;; amdgpu-corpus repo=ROCm/rocFFT kind=compiled arch=gfx1201 opt=O3
	.text
	.amdgcn_target "amdgcn-amd-amdhsa--gfx1201"
	.amdhsa_code_object_version 6
	.protected	fft_rtc_fwd_len80_factors_4_4_5_wgs_190_tpt_5_halfLds_dim2_sp_ip_CI_sbcc_twdbase8_3step_dirReg_intrinsicReadWrite ; -- Begin function fft_rtc_fwd_len80_factors_4_4_5_wgs_190_tpt_5_halfLds_dim2_sp_ip_CI_sbcc_twdbase8_3step_dirReg_intrinsicReadWrite
	.globl	fft_rtc_fwd_len80_factors_4_4_5_wgs_190_tpt_5_halfLds_dim2_sp_ip_CI_sbcc_twdbase8_3step_dirReg_intrinsicReadWrite
	.p2align	8
	.type	fft_rtc_fwd_len80_factors_4_4_5_wgs_190_tpt_5_halfLds_dim2_sp_ip_CI_sbcc_twdbase8_3step_dirReg_intrinsicReadWrite,@function
fft_rtc_fwd_len80_factors_4_4_5_wgs_190_tpt_5_halfLds_dim2_sp_ip_CI_sbcc_twdbase8_3step_dirReg_intrinsicReadWrite: ; @fft_rtc_fwd_len80_factors_4_4_5_wgs_190_tpt_5_halfLds_dim2_sp_ip_CI_sbcc_twdbase8_3step_dirReg_intrinsicReadWrite
; %bb.0:
	s_load_b128 s[4:7], s[0:1], 0x10
	s_mov_b32 s3, 0
	s_mov_b32 s8, 0x286b7a80
	;; [unrolled: 1-line block ×4, first 2 shown]
	s_movk_i32 s10, 0xffda
	s_add_nc_u64 s[8:9], s[2:3], s[8:9]
	s_mov_b32 s11, -1
	s_add_co_i32 s9, s9, 0x6bca198
	s_delay_alu instid0(SALU_CYCLE_1) | instskip(NEXT) | instid1(SALU_CYCLE_1)
	s_mul_u64 s[12:13], s[8:9], s[10:11]
	s_mul_hi_u32 s2, s8, s12
	s_mul_i32 s15, s9, s12
	s_mul_hi_u32 s14, s9, s12
	s_mul_hi_u32 s16, s9, s13
	s_mul_i32 s12, s9, s13
	s_wait_kmcnt 0x0
	s_load_b64 s[10:11], s[4:5], 0x8
	s_mul_hi_u32 s5, s8, s13
	s_mul_i32 s4, s8, s13
	s_delay_alu instid0(SALU_CYCLE_1) | instskip(NEXT) | instid1(SALU_CYCLE_1)
	s_add_nc_u64 s[4:5], s[2:3], s[4:5]
	s_add_co_u32 s2, s4, s15
	s_add_co_ci_u32 s2, s5, s14
	s_add_co_ci_u32 s13, s16, 0
	s_delay_alu instid0(SALU_CYCLE_1) | instskip(NEXT) | instid1(SALU_CYCLE_1)
	s_add_nc_u64 s[4:5], s[2:3], s[12:13]
	v_add_co_u32 v1, s2, s8, s4
	s_delay_alu instid0(VALU_DEP_1) | instskip(SKIP_1) | instid1(VALU_DEP_1)
	s_cmp_lg_u32 s2, 0
	s_add_co_ci_u32 s12, s9, s5
	v_readfirstlane_b32 s13, v1
	s_wait_kmcnt 0x0
	s_add_nc_u64 s[4:5], s[10:11], -1
	s_wait_alu 0xfffe
	s_mul_hi_u32 s9, s4, s12
	s_mul_i32 s8, s4, s12
	s_mul_hi_u32 s2, s4, s13
	s_mul_hi_u32 s15, s5, s13
	s_mul_i32 s13, s5, s13
	s_wait_alu 0xfffe
	s_add_nc_u64 s[8:9], s[2:3], s[8:9]
	s_mul_hi_u32 s14, s5, s12
	s_wait_alu 0xfffe
	s_add_co_u32 s2, s8, s13
	s_add_co_ci_u32 s2, s9, s15
	s_mul_i32 s12, s5, s12
	s_add_co_ci_u32 s13, s14, 0
	s_delay_alu instid0(SALU_CYCLE_1) | instskip(NEXT) | instid1(SALU_CYCLE_1)
	s_add_nc_u64 s[12:13], s[2:3], s[12:13]
	s_mul_u64 s[8:9], s[12:13], 38
	s_wait_alu 0xfffe
	v_sub_co_u32 v1, s2, s4, s8
	s_delay_alu instid0(VALU_DEP_1) | instskip(SKIP_1) | instid1(VALU_DEP_1)
	s_cmp_lg_u32 s2, 0
	s_sub_co_ci_u32 s14, s5, s9
	v_sub_co_u32 v2, s4, v1, 38
	s_delay_alu instid0(VALU_DEP_1) | instskip(SKIP_2) | instid1(VALU_DEP_2)
	s_cmp_lg_u32 s4, 0
	v_readfirstlane_b32 s15, v1
	s_sub_co_ci_u32 s8, s14, 0
	v_readfirstlane_b32 s2, v2
	s_add_nc_u64 s[4:5], s[12:13], 1
	s_delay_alu instid0(VALU_DEP_1)
	s_cmp_gt_u32 s2, 37
	s_cselect_b32 s2, -1, 0
	s_wait_alu 0xfffe
	s_cmp_eq_u32 s8, 0
	s_add_nc_u64 s[8:9], s[12:13], 2
	s_cselect_b32 s2, s2, -1
	s_delay_alu instid0(SALU_CYCLE_1)
	s_cmp_lg_u32 s2, 0
	s_wait_alu 0xfffe
	s_cselect_b32 s2, s8, s4
	s_cselect_b32 s16, s9, s5
	s_cmp_gt_u32 s15, 37
	s_load_b64 s[4:5], s[0:1], 0x50
	s_cselect_b32 s8, -1, 0
	s_cmp_eq_u32 s14, 0
	s_wait_alu 0xfffe
	s_cselect_b32 s14, s8, -1
	s_load_b64 s[8:9], s[6:7], 0x0
	s_cmp_lg_u32 s14, 0
	s_mov_b64 s[14:15], 0
	s_cselect_b32 s13, s16, s13
	s_cselect_b32 s12, s2, s12
	s_mov_b32 s2, ttmp9
	s_add_nc_u64 s[12:13], s[12:13], 1
	s_wait_kmcnt 0x0
	v_cmp_lt_u64_e64 s9, s[2:3], s[12:13]
	s_delay_alu instid0(VALU_DEP_1)
	s_and_b32 vcc_lo, exec_lo, s9
	s_cbranch_vccnz .LBB0_2
; %bb.1:
	v_cvt_f32_u32_e32 v1, s12
	s_sub_co_i32 s14, 0, s12
	s_delay_alu instid0(VALU_DEP_1) | instskip(NEXT) | instid1(TRANS32_DEP_1)
	v_rcp_iflag_f32_e32 v1, v1
	v_mul_f32_e32 v1, 0x4f7ffffe, v1
	s_delay_alu instid0(VALU_DEP_1) | instskip(NEXT) | instid1(VALU_DEP_1)
	v_cvt_u32_f32_e32 v1, v1
	v_readfirstlane_b32 s9, v1
	s_delay_alu instid0(VALU_DEP_1) | instskip(NEXT) | instid1(SALU_CYCLE_1)
	s_mul_i32 s14, s14, s9
	s_mul_hi_u32 s14, s9, s14
	s_delay_alu instid0(SALU_CYCLE_1)
	s_add_co_i32 s9, s9, s14
	s_wait_alu 0xfffe
	s_mul_hi_u32 s9, s2, s9
	s_wait_alu 0xfffe
	s_mul_i32 s14, s9, s12
	s_add_co_i32 s15, s9, 1
	s_sub_co_i32 s14, s2, s14
	s_delay_alu instid0(SALU_CYCLE_1)
	s_sub_co_i32 s16, s14, s12
	s_cmp_ge_u32 s14, s12
	s_cselect_b32 s9, s15, s9
	s_cselect_b32 s14, s16, s14
	s_wait_alu 0xfffe
	s_add_co_i32 s15, s9, 1
	s_cmp_ge_u32 s14, s12
	s_cselect_b32 s14, s15, s9
	s_mov_b32 s15, s3
.LBB0_2:
	v_mul_u32_u24_e32 v1, 0x6bd, v0
	s_load_b128 s[16:19], s[6:7], 0x8
	s_mul_u64 s[6:7], s[14:15], s[12:13]
	v_mov_b32_e32 v4, 0
	s_sub_nc_u64 s[2:3], s[2:3], s[6:7]
	v_lshrrev_b32_e32 v151, 16, v1
	s_wait_alu 0xfffe
	s_mul_u64 s[6:7], s[2:3], 38
	v_mov_b32_e32 v3, 0
	s_add_nc_u64 s[2:3], s[6:7], 38
	v_mul_lo_u16 v1, v151, 38
	s_wait_alu 0xfffe
	v_cmp_le_u64_e64 s3, s[2:3], s[10:11]
	s_delay_alu instid0(VALU_DEP_2) | instskip(NEXT) | instid1(VALU_DEP_1)
	v_sub_nc_u16 v1, v0, v1
	v_and_b32_e32 v36, 0xffff, v1
	s_wait_kmcnt 0x0
	s_mul_u64 s[12:13], s[18:19], s[14:15]
	s_delay_alu instid0(VALU_DEP_1) | instskip(NEXT) | instid1(VALU_DEP_1)
	v_mad_co_u64_u32 v[33:34], null, s16, v36, 0
	v_mov_b32_e32 v1, v34
	v_add_co_u32 v34, s2, s6, v36
	s_wait_alu 0xf1ff
	v_add_co_ci_u32_e64 v35, null, s7, 0, s2
	s_delay_alu instid0(VALU_DEP_3) | instskip(SKIP_1) | instid1(VALU_DEP_2)
	v_mad_co_u64_u32 v[1:2], null, s17, v36, v[1:2]
	s_mul_u64 s[6:7], s[6:7], s[16:17]
	v_cmp_gt_u64_e32 vcc_lo, s[10:11], v[34:35]
	v_mov_b32_e32 v2, 0
	s_wait_alu 0xfffe
	s_add_nc_u64 s[6:7], s[12:13], s[6:7]
	s_or_b32 s7, s3, vcc_lo
	s_wait_alu 0xfffe
	s_and_saveexec_b32 s9, s7
	s_cbranch_execz .LBB0_4
; %bb.3:
	v_mul_lo_u32 v1, s8, v151
	v_mov_b32_e32 v4, 0
	s_delay_alu instid0(VALU_DEP_2) | instskip(NEXT) | instid1(VALU_DEP_1)
	v_add3_u32 v3, s6, v33, v1
	v_lshlrev_b64_e32 v[3:4], 3, v[3:4]
	s_delay_alu instid0(VALU_DEP_1) | instskip(SKIP_1) | instid1(VALU_DEP_2)
	v_add_co_u32 v3, s2, s4, v3
	s_wait_alu 0xf1ff
	v_add_co_ci_u32_e64 v4, s2, s5, v4, s2
	global_load_b64 v[3:4], v[3:4], off
.LBB0_4:
	s_wait_alu 0xfffe
	s_or_b32 exec_lo, exec_lo, s9
	v_mov_b32_e32 v1, 0
	s_and_saveexec_b32 s9, s7
	s_cbranch_execz .LBB0_6
; %bb.5:
	v_dual_mov_b32 v2, 0 :: v_dual_add_nc_u32 v1, 20, v151
	s_delay_alu instid0(VALU_DEP_1) | instskip(NEXT) | instid1(VALU_DEP_1)
	v_mul_lo_u32 v1, s8, v1
	v_add3_u32 v1, s6, v33, v1
	s_delay_alu instid0(VALU_DEP_1) | instskip(NEXT) | instid1(VALU_DEP_1)
	v_lshlrev_b64_e32 v[1:2], 3, v[1:2]
	v_add_co_u32 v1, s2, s4, v1
	s_wait_alu 0xf1ff
	s_delay_alu instid0(VALU_DEP_2)
	v_add_co_ci_u32_e64 v2, s2, s5, v2, s2
	global_load_b64 v[1:2], v[1:2], off
.LBB0_6:
	s_wait_alu 0xfffe
	s_or_b32 exec_lo, exec_lo, s9
	v_dual_mov_b32 v6, 0 :: v_dual_mov_b32 v7, 0
	v_mov_b32_e32 v8, 0
	s_and_saveexec_b32 s9, s7
	s_cbranch_execz .LBB0_8
; %bb.7:
	v_or_b32_e32 v5, 40, v151
	v_mov_b32_e32 v8, 0
	s_delay_alu instid0(VALU_DEP_2) | instskip(NEXT) | instid1(VALU_DEP_1)
	v_mul_lo_u32 v5, s8, v5
	v_add3_u32 v7, s6, v33, v5
	s_delay_alu instid0(VALU_DEP_1) | instskip(NEXT) | instid1(VALU_DEP_1)
	v_lshlrev_b64_e32 v[7:8], 3, v[7:8]
	v_add_co_u32 v7, s2, s4, v7
	s_wait_alu 0xf1ff
	s_delay_alu instid0(VALU_DEP_2)
	v_add_co_ci_u32_e64 v8, s2, s5, v8, s2
	global_load_b64 v[7:8], v[7:8], off
.LBB0_8:
	s_wait_alu 0xfffe
	s_or_b32 exec_lo, exec_lo, s9
	v_mov_b32_e32 v5, 0
	s_and_saveexec_b32 s9, s7
	s_cbranch_execz .LBB0_10
; %bb.9:
	v_dual_mov_b32 v6, 0 :: v_dual_add_nc_u32 v5, 60, v151
	s_delay_alu instid0(VALU_DEP_1) | instskip(NEXT) | instid1(VALU_DEP_1)
	v_mul_lo_u32 v5, s8, v5
	v_add3_u32 v5, s6, v33, v5
	s_delay_alu instid0(VALU_DEP_1) | instskip(NEXT) | instid1(VALU_DEP_1)
	v_lshlrev_b64_e32 v[5:6], 3, v[5:6]
	v_add_co_u32 v5, s2, s4, v5
	s_wait_alu 0xf1ff
	s_delay_alu instid0(VALU_DEP_2)
	v_add_co_ci_u32_e64 v6, s2, s5, v6, s2
	global_load_b64 v[5:6], v[5:6], off
.LBB0_10:
	s_wait_alu 0xfffe
	s_or_b32 exec_lo, exec_lo, s9
	v_dual_mov_b32 v11, 0 :: v_dual_add_nc_u32 v150, 5, v151
	v_mov_b32_e32 v10, 0
	v_mov_b32_e32 v12, 0
	s_and_saveexec_b32 s9, s7
	s_cbranch_execz .LBB0_12
; %bb.11:
	v_mul_lo_u32 v9, s8, v150
	v_mov_b32_e32 v12, 0
	s_delay_alu instid0(VALU_DEP_2) | instskip(NEXT) | instid1(VALU_DEP_1)
	v_add3_u32 v11, s6, v33, v9
	v_lshlrev_b64_e32 v[11:12], 3, v[11:12]
	s_delay_alu instid0(VALU_DEP_1) | instskip(SKIP_1) | instid1(VALU_DEP_2)
	v_add_co_u32 v11, s2, s4, v11
	s_wait_alu 0xf1ff
	v_add_co_ci_u32_e64 v12, s2, s5, v12, s2
	global_load_b64 v[11:12], v[11:12], off
.LBB0_12:
	s_wait_alu 0xfffe
	s_or_b32 exec_lo, exec_lo, s9
	v_mov_b32_e32 v9, 0
	s_and_saveexec_b32 s9, s7
	s_cbranch_execz .LBB0_14
; %bb.13:
	v_dual_mov_b32 v10, 0 :: v_dual_add_nc_u32 v9, 25, v151
	s_delay_alu instid0(VALU_DEP_1) | instskip(NEXT) | instid1(VALU_DEP_1)
	v_mul_lo_u32 v9, s8, v9
	v_add3_u32 v9, s6, v33, v9
	s_delay_alu instid0(VALU_DEP_1) | instskip(NEXT) | instid1(VALU_DEP_1)
	v_lshlrev_b64_e32 v[9:10], 3, v[9:10]
	v_add_co_u32 v9, s2, s4, v9
	s_wait_alu 0xf1ff
	s_delay_alu instid0(VALU_DEP_2)
	v_add_co_ci_u32_e64 v10, s2, s5, v10, s2
	global_load_b64 v[9:10], v[9:10], off
.LBB0_14:
	s_wait_alu 0xfffe
	s_or_b32 exec_lo, exec_lo, s9
	v_dual_mov_b32 v14, 0 :: v_dual_mov_b32 v15, 0
	v_mov_b32_e32 v16, 0
	s_and_saveexec_b32 s9, s7
	s_cbranch_execz .LBB0_16
; %bb.15:
	v_dual_mov_b32 v16, 0 :: v_dual_add_nc_u32 v13, 45, v151
	s_delay_alu instid0(VALU_DEP_1) | instskip(NEXT) | instid1(VALU_DEP_1)
	v_mul_lo_u32 v13, s8, v13
	v_add3_u32 v15, s6, v33, v13
	s_delay_alu instid0(VALU_DEP_1) | instskip(NEXT) | instid1(VALU_DEP_1)
	v_lshlrev_b64_e32 v[15:16], 3, v[15:16]
	v_add_co_u32 v15, s2, s4, v15
	s_wait_alu 0xf1ff
	s_delay_alu instid0(VALU_DEP_2)
	v_add_co_ci_u32_e64 v16, s2, s5, v16, s2
	global_load_b64 v[15:16], v[15:16], off
.LBB0_16:
	s_wait_alu 0xfffe
	s_or_b32 exec_lo, exec_lo, s9
	v_mov_b32_e32 v13, 0
	s_and_saveexec_b32 s9, s7
	s_cbranch_execz .LBB0_18
; %bb.17:
	v_dual_mov_b32 v14, 0 :: v_dual_add_nc_u32 v13, 0x41, v151
	s_delay_alu instid0(VALU_DEP_1) | instskip(NEXT) | instid1(VALU_DEP_1)
	v_mul_lo_u32 v13, s8, v13
	v_add3_u32 v13, s6, v33, v13
	s_delay_alu instid0(VALU_DEP_1) | instskip(NEXT) | instid1(VALU_DEP_1)
	v_lshlrev_b64_e32 v[13:14], 3, v[13:14]
	v_add_co_u32 v13, s2, s4, v13
	s_wait_alu 0xf1ff
	s_delay_alu instid0(VALU_DEP_2)
	v_add_co_ci_u32_e64 v14, s2, s5, v14, s2
	global_load_b64 v[13:14], v[13:14], off
.LBB0_18:
	s_wait_alu 0xfffe
	s_or_b32 exec_lo, exec_lo, s9
	v_dual_mov_b32 v19, 0 :: v_dual_add_nc_u32 v152, 10, v151
	v_mov_b32_e32 v18, 0
	v_mov_b32_e32 v20, 0
	s_and_saveexec_b32 s9, s7
	s_cbranch_execz .LBB0_20
; %bb.19:
	v_mul_lo_u32 v17, s8, v152
	v_mov_b32_e32 v20, 0
	s_delay_alu instid0(VALU_DEP_2) | instskip(NEXT) | instid1(VALU_DEP_1)
	v_add3_u32 v19, s6, v33, v17
	v_lshlrev_b64_e32 v[19:20], 3, v[19:20]
	s_delay_alu instid0(VALU_DEP_1) | instskip(SKIP_1) | instid1(VALU_DEP_2)
	v_add_co_u32 v19, s2, s4, v19
	s_wait_alu 0xf1ff
	v_add_co_ci_u32_e64 v20, s2, s5, v20, s2
	global_load_b64 v[19:20], v[19:20], off
.LBB0_20:
	s_wait_alu 0xfffe
	s_or_b32 exec_lo, exec_lo, s9
	v_mov_b32_e32 v17, 0
	s_and_saveexec_b32 s9, s7
	s_cbranch_execz .LBB0_22
; %bb.21:
	v_dual_mov_b32 v18, 0 :: v_dual_add_nc_u32 v17, 30, v151
	s_delay_alu instid0(VALU_DEP_1) | instskip(NEXT) | instid1(VALU_DEP_1)
	v_mul_lo_u32 v17, s8, v17
	v_add3_u32 v17, s6, v33, v17
	s_delay_alu instid0(VALU_DEP_1) | instskip(NEXT) | instid1(VALU_DEP_1)
	v_lshlrev_b64_e32 v[17:18], 3, v[17:18]
	v_add_co_u32 v17, s2, s4, v17
	s_wait_alu 0xf1ff
	s_delay_alu instid0(VALU_DEP_2)
	v_add_co_ci_u32_e64 v18, s2, s5, v18, s2
	global_load_b64 v[17:18], v[17:18], off
.LBB0_22:
	s_wait_alu 0xfffe
	s_or_b32 exec_lo, exec_lo, s9
	v_dual_mov_b32 v22, 0 :: v_dual_mov_b32 v23, 0
	v_mov_b32_e32 v24, 0
	s_and_saveexec_b32 s9, s7
	s_cbranch_execz .LBB0_24
; %bb.23:
	v_dual_mov_b32 v24, 0 :: v_dual_add_nc_u32 v21, 50, v151
	s_delay_alu instid0(VALU_DEP_1) | instskip(NEXT) | instid1(VALU_DEP_1)
	v_mul_lo_u32 v21, s8, v21
	v_add3_u32 v23, s6, v33, v21
	s_delay_alu instid0(VALU_DEP_1) | instskip(NEXT) | instid1(VALU_DEP_1)
	v_lshlrev_b64_e32 v[23:24], 3, v[23:24]
	v_add_co_u32 v23, s2, s4, v23
	s_wait_alu 0xf1ff
	s_delay_alu instid0(VALU_DEP_2)
	v_add_co_ci_u32_e64 v24, s2, s5, v24, s2
	global_load_b64 v[23:24], v[23:24], off
.LBB0_24:
	s_wait_alu 0xfffe
	s_or_b32 exec_lo, exec_lo, s9
	v_mov_b32_e32 v21, 0
	s_and_saveexec_b32 s9, s7
	s_cbranch_execz .LBB0_26
; %bb.25:
	v_dual_mov_b32 v22, 0 :: v_dual_add_nc_u32 v21, 0x46, v151
	s_delay_alu instid0(VALU_DEP_1) | instskip(NEXT) | instid1(VALU_DEP_1)
	v_mul_lo_u32 v21, s8, v21
	v_add3_u32 v21, s6, v33, v21
	s_delay_alu instid0(VALU_DEP_1) | instskip(NEXT) | instid1(VALU_DEP_1)
	v_lshlrev_b64_e32 v[21:22], 3, v[21:22]
	v_add_co_u32 v21, s2, s4, v21
	s_wait_alu 0xf1ff
	s_delay_alu instid0(VALU_DEP_2)
	v_add_co_ci_u32_e64 v22, s2, s5, v22, s2
	global_load_b64 v[21:22], v[21:22], off
.LBB0_26:
	s_wait_alu 0xfffe
	s_or_b32 exec_lo, exec_lo, s9
	v_dual_mov_b32 v26, 0 :: v_dual_add_nc_u32 v149, 15, v151
	v_dual_mov_b32 v28, 0 :: v_dual_mov_b32 v27, 0
	s_and_saveexec_b32 s9, s7
	s_cbranch_execz .LBB0_28
; %bb.27:
	s_delay_alu instid0(VALU_DEP_2) | instskip(SKIP_1) | instid1(VALU_DEP_2)
	v_mul_lo_u32 v25, s8, v149
	v_mov_b32_e32 v28, 0
	v_add3_u32 v27, s6, v33, v25
	s_delay_alu instid0(VALU_DEP_1) | instskip(NEXT) | instid1(VALU_DEP_1)
	v_lshlrev_b64_e32 v[27:28], 3, v[27:28]
	v_add_co_u32 v27, s2, s4, v27
	s_wait_alu 0xf1ff
	s_delay_alu instid0(VALU_DEP_2)
	v_add_co_ci_u32_e64 v28, s2, s5, v28, s2
	global_load_b64 v[27:28], v[27:28], off
.LBB0_28:
	s_wait_alu 0xfffe
	s_or_b32 exec_lo, exec_lo, s9
	v_mov_b32_e32 v25, 0
	s_and_saveexec_b32 s9, s7
	s_cbranch_execz .LBB0_30
; %bb.29:
	v_dual_mov_b32 v26, 0 :: v_dual_add_nc_u32 v25, 35, v151
	s_delay_alu instid0(VALU_DEP_1) | instskip(NEXT) | instid1(VALU_DEP_1)
	v_mul_lo_u32 v25, s8, v25
	v_add3_u32 v25, s6, v33, v25
	s_delay_alu instid0(VALU_DEP_1) | instskip(NEXT) | instid1(VALU_DEP_1)
	v_lshlrev_b64_e32 v[25:26], 3, v[25:26]
	v_add_co_u32 v25, s2, s4, v25
	s_wait_alu 0xf1ff
	s_delay_alu instid0(VALU_DEP_2)
	v_add_co_ci_u32_e64 v26, s2, s5, v26, s2
	global_load_b64 v[25:26], v[25:26], off
.LBB0_30:
	s_wait_alu 0xfffe
	s_or_b32 exec_lo, exec_lo, s9
	s_load_b64 s[10:11], s[0:1], 0x0
	v_dual_mov_b32 v30, 0 :: v_dual_mov_b32 v31, 0
	v_mov_b32_e32 v32, 0
	s_and_saveexec_b32 s9, s7
	s_cbranch_execz .LBB0_32
; %bb.31:
	v_dual_mov_b32 v32, 0 :: v_dual_add_nc_u32 v29, 55, v151
	s_delay_alu instid0(VALU_DEP_1) | instskip(NEXT) | instid1(VALU_DEP_1)
	v_mul_lo_u32 v29, s8, v29
	v_add3_u32 v31, s6, v33, v29
	s_delay_alu instid0(VALU_DEP_1) | instskip(NEXT) | instid1(VALU_DEP_1)
	v_lshlrev_b64_e32 v[31:32], 3, v[31:32]
	v_add_co_u32 v31, s2, s4, v31
	s_wait_alu 0xf1ff
	s_delay_alu instid0(VALU_DEP_2)
	v_add_co_ci_u32_e64 v32, s2, s5, v32, s2
	global_load_b64 v[31:32], v[31:32], off
.LBB0_32:
	s_wait_alu 0xfffe
	s_or_b32 exec_lo, exec_lo, s9
	v_mov_b32_e32 v29, 0
	s_and_saveexec_b32 s9, s7
	s_cbranch_execz .LBB0_34
; %bb.33:
	v_dual_mov_b32 v30, 0 :: v_dual_add_nc_u32 v29, 0x4b, v151
	s_delay_alu instid0(VALU_DEP_1) | instskip(NEXT) | instid1(VALU_DEP_1)
	v_mul_lo_u32 v29, s8, v29
	v_add3_u32 v29, s6, v33, v29
	s_delay_alu instid0(VALU_DEP_1) | instskip(NEXT) | instid1(VALU_DEP_1)
	v_lshlrev_b64_e32 v[29:30], 3, v[29:30]
	v_add_co_u32 v29, s2, s4, v29
	s_wait_alu 0xf1ff
	s_delay_alu instid0(VALU_DEP_2)
	v_add_co_ci_u32_e64 v30, s2, s5, v30, s2
	global_load_b64 v[29:30], v[29:30], off
.LBB0_34:
	s_wait_alu 0xfffe
	s_or_b32 exec_lo, exec_lo, s9
	s_wait_loadcnt 0x0
	v_dual_sub_f32 v7, v3, v7 :: v_dual_sub_f32 v8, v4, v8
	v_dual_sub_f32 v5, v1, v5 :: v_dual_sub_f32 v6, v2, v6
	v_sub_f32_e32 v13, v9, v13
	s_delay_alu instid0(VALU_DEP_3) | instskip(NEXT) | instid1(VALU_DEP_4)
	v_fma_f32 v3, v3, 2.0, -v7
	v_fma_f32 v4, v4, 2.0, -v8
	s_delay_alu instid0(VALU_DEP_4)
	v_fma_f32 v1, v1, 2.0, -v5
	v_fma_f32 v2, v2, 2.0, -v6
	v_sub_f32_e32 v6, v7, v6
	v_sub_f32_e32 v15, v11, v15
	v_dual_add_f32 v5, v8, v5 :: v_dual_sub_f32 v14, v10, v14
	v_dual_sub_f32 v1, v3, v1 :: v_dual_sub_f32 v16, v12, v16
	v_sub_f32_e32 v2, v4, v2
	s_delay_alu instid0(VALU_DEP_4) | instskip(SKIP_4) | instid1(VALU_DEP_4)
	v_fma_f32 v11, v11, 2.0, -v15
	v_fma_f32 v9, v9, 2.0, -v13
	;; [unrolled: 1-line block ×4, first 2 shown]
	v_dual_sub_f32 v23, v19, v23 :: v_dual_sub_f32 v22, v18, v22
	v_dual_sub_f32 v9, v11, v9 :: v_dual_sub_f32 v24, v20, v24
	s_delay_alu instid0(VALU_DEP_3) | instskip(NEXT) | instid1(VALU_DEP_3)
	v_dual_sub_f32 v21, v17, v21 :: v_dual_sub_f32 v10, v12, v10
	v_fma_f32 v19, v19, 2.0, -v23
	s_delay_alu instid0(VALU_DEP_4) | instskip(NEXT) | instid1(VALU_DEP_4)
	v_fma_f32 v18, v18, 2.0, -v22
	v_fma_f32 v20, v20, 2.0, -v24
	s_delay_alu instid0(VALU_DEP_4) | instskip(SKIP_1) | instid1(VALU_DEP_3)
	v_fma_f32 v17, v17, 2.0, -v21
	v_dual_sub_f32 v30, v26, v30 :: v_dual_add_f32 v21, v24, v21
	v_dual_sub_f32 v35, v20, v18 :: v_dual_lshlrev_b32 v42, 2, v36
	s_delay_alu instid0(VALU_DEP_3) | instskip(NEXT) | instid1(VALU_DEP_3)
	v_sub_f32_e32 v17, v19, v17
	v_fma_f32 v26, v26, 2.0, -v30
	v_dual_sub_f32 v14, v15, v14 :: v_dual_add_f32 v13, v16, v13
	s_delay_alu instid0(VALU_DEP_4) | instskip(NEXT) | instid1(VALU_DEP_4)
	v_fma_f32 v37, v20, 2.0, -v35
	v_fma_f32 v18, v19, 2.0, -v17
	v_dual_sub_f32 v19, v23, v22 :: v_dual_sub_f32 v22, v25, v29
	v_sub_f32_e32 v20, v27, v31
	v_mul_u32_u24_e32 v31, 0x98, v150
	v_fma_f32 v3, v3, 2.0, -v1
	v_fma_f32 v7, v7, 2.0, -v6
	;; [unrolled: 1-line block ×4, first 2 shown]
	v_sub_f32_e32 v30, v20, v30
	v_fma_f32 v11, v11, 2.0, -v9
	v_fma_f32 v15, v15, 2.0, -v14
	;; [unrolled: 1-line block ×3, first 2 shown]
	v_sub_f32_e32 v25, v27, v25
	v_fma_f32 v20, v20, 2.0, -v30
	v_fma_f32 v4, v4, 2.0, -v2
	;; [unrolled: 1-line block ×5, first 2 shown]
	v_lshlrev_b32_e32 v27, 2, v31
	v_fma_f32 v16, v16, 2.0, -v13
	v_fma_f32 v24, v24, 2.0, -v21
	v_cmp_gt_u32_e64 s2, 38, v0
                                        ; implicit-def: $vgpr157
                                        ; implicit-def: $vgpr158
                                        ; implicit-def: $vgpr160
                                        ; implicit-def: $vgpr159
	s_delay_alu instid0(VALU_DEP_4) | instskip(SKIP_2) | instid1(VALU_DEP_1)
	v_add3_u32 v39, 0, v27, v42
	v_sub_f32_e32 v29, v28, v32
	v_mul_u32_u24_e32 v32, 0x260, v151
	v_add3_u32 v31, 0, v32, v42
	ds_store_2addr_b32 v31, v3, v7 offset1:38
	ds_store_2addr_b32 v31, v1, v6 offset0:76 offset1:114
	ds_store_2addr_b32 v39, v11, v15 offset1:38
	v_add_nc_u32_e32 v6, 0x1600, v39
	v_dual_add_f32 v22, v29, v22 :: v_dual_add_nc_u32 v1, 0xa00, v39
	v_mad_i32_i24 v27, 0xfffffe38, v151, v31
	v_add_nc_u32_e32 v3, 0xc00, v39
	v_fma_f32 v28, v28, 2.0, -v29
	ds_store_2addr_b32 v39, v9, v14 offset0:76 offset1:114
	ds_store_2addr_b32 v1, v18, v23 offset0:120 offset1:158
	ds_store_2addr_b32 v3, v17, v19 offset0:68 offset1:106
	v_add_nc_u32_e32 v23, 0xb00, v27
	v_add_nc_u32_e32 v7, 0x1800, v39
	v_dual_sub_f32 v26, v28, v26 :: v_dual_add_nc_u32 v43, 0x1700, v27
	v_add_nc_u32_e32 v44, 0x2300, v27
	v_mul_i32_i24_e32 v9, 0xfffffe38, v152
	v_mul_i32_i24_e32 v11, 0xfffffe38, v149
	ds_store_2addr_b32 v6, v38, v20 offset0:112 offset1:150
	ds_store_2addr_b32 v7, v25, v30 offset0:60 offset1:98
	global_wb scope:SCOPE_SE
	s_wait_dscnt 0x0
	s_wait_kmcnt 0x0
	s_barrier_signal -1
	s_barrier_wait -1
	global_inv scope:SCOPE_SE
	ds_load_2addr_b32 v[53:54], v23 offset0:56 offset1:246
	ds_load_2addr_b32 v[17:18], v43 offset0:48 offset1:238
	;; [unrolled: 1-line block ×3, first 2 shown]
	v_add_nc_u32_e32 v45, 0x1100, v27
	v_add_nc_u32_e32 v47, 0x2900, v27
	;; [unrolled: 1-line block ×3, first 2 shown]
	v_fma_f32 v32, v28, 2.0, -v26
	v_mad_i32_i24 v28, 0xfffffe38, v150, v39
	v_add3_u32 v30, 0xbe0, v39, v9
	v_fma_f32 v40, v29, 2.0, -v22
	v_add3_u32 v29, 0x17c0, v39, v11
	ds_load_2addr_b32 v[57:58], v45 offset0:52 offset1:242
	ds_load_2addr_b32 v[19:20], v46 offset0:44 offset1:234
	;; [unrolled: 1-line block ×3, first 2 shown]
	ds_load_b32 v77, v27
	ds_load_b32 v78, v28
	;; [unrolled: 1-line block ×4, first 2 shown]
	global_wb scope:SCOPE_SE
	s_wait_dscnt 0x0
	s_barrier_signal -1
	s_barrier_wait -1
	global_inv scope:SCOPE_SE
	ds_store_2addr_b32 v31, v4, v8 offset1:38
	ds_store_2addr_b32 v31, v2, v5 offset0:76 offset1:114
	ds_store_2addr_b32 v39, v12, v16 offset1:38
	v_and_b32_e32 v2, 3, v151
	ds_store_2addr_b32 v39, v10, v13 offset0:76 offset1:114
	ds_store_2addr_b32 v1, v37, v24 offset0:120 offset1:158
	;; [unrolled: 1-line block ×4, first 2 shown]
	v_and_b32_e32 v1, 3, v150
	v_and_b32_e32 v21, 3, v152
	ds_store_2addr_b32 v7, v26, v22 offset0:60 offset1:98
	v_mul_u32_u24_e32 v2, 3, v2
	v_and_b32_e32 v22, 3, v149
	v_mul_u32_u24_e32 v1, 3, v1
	v_mul_u32_u24_e32 v3, 3, v21
	global_wb scope:SCOPE_SE
	s_wait_dscnt 0x0
	v_lshlrev_b32_e32 v2, 3, v2
	s_barrier_signal -1
	v_lshlrev_b32_e32 v1, 3, v1
	s_barrier_wait -1
	global_inv scope:SCOPE_SE
	s_clause 0x1
	global_load_b128 v[9:12], v2, s[10:11]
	global_load_b64 v[61:62], v2, s[10:11] offset:16
	v_mul_u32_u24_e32 v2, 3, v22
	v_lshlrev_b32_e32 v5, 3, v3
	s_clause 0x1
	global_load_b128 v[13:16], v1, s[10:11]
	global_load_b64 v[63:64], v1, s[10:11] offset:16
	v_lshlrev_b32_e32 v26, 2, v150
	v_lshlrev_b32_e32 v24, 3, v2
	s_clause 0x3
	global_load_b128 v[1:4], v5, s[10:11]
	global_load_b64 v[65:66], v5, s[10:11] offset:16
	global_load_b128 v[5:8], v24, s[10:11]
	global_load_b64 v[67:68], v24, s[10:11] offset:16
	v_lshlrev_b32_e32 v25, 2, v151
	v_lshlrev_b32_e32 v156, 2, v152
	;; [unrolled: 1-line block ×3, first 2 shown]
	v_or_b32_e32 v31, v26, v150
	v_add_nc_u32_e32 v35, 0x900, v27
	v_or_b32_e32 v24, v25, v151
	v_and_or_b32 v21, 0x70, v156, v21
	v_and_or_b32 v22, 0x70, v153, v22
	v_and_b32_e32 v31, 51, v31
	s_delay_alu instid0(VALU_DEP_4) | instskip(NEXT) | instid1(VALU_DEP_4)
	v_and_b32_e32 v24, 19, v24
	v_mul_u32_u24_e32 v21, 0x98, v21
	s_delay_alu instid0(VALU_DEP_4) | instskip(NEXT) | instid1(VALU_DEP_4)
	v_mul_u32_u24_e32 v22, 0x98, v22
	v_mul_u32_u24_e32 v81, 0x98, v31
	s_delay_alu instid0(VALU_DEP_4) | instskip(NEXT) | instid1(VALU_DEP_4)
	v_mul_u32_u24_e32 v52, 0x98, v24
	v_add3_u32 v32, 0, v21, v42
	s_delay_alu instid0(VALU_DEP_4)
	v_add3_u32 v31, 0, v22, v42
	ds_load_2addr_b32 v[69:70], v23 offset0:56 offset1:246
	ds_load_2addr_b32 v[23:24], v43 offset0:48 offset1:238
	;; [unrolled: 1-line block ×6, first 2 shown]
	ds_load_b32 v50, v27
	ds_load_b32 v51, v28
	;; [unrolled: 1-line block ×4, first 2 shown]
	v_add3_u32 v44, 0, v81, v42
	v_add3_u32 v45, 0, v52, v42
	global_wb scope:SCOPE_SE
	s_wait_loadcnt_dscnt 0x0
	s_barrier_signal -1
	s_barrier_wait -1
	global_inv scope:SCOPE_SE
	v_mul_f32_e32 v81, v69, v10
	v_mul_f32_e32 v52, v53, v10
	;; [unrolled: 1-line block ×4, first 2 shown]
	v_dual_mul_f32 v62, v55, v62 :: v_dual_mul_f32 v85, v72, v64
	v_dual_mul_f32 v64, v56, v64 :: v_dual_add_nc_u32 v37, 0xf40, v27
	v_dual_fmac_f32 v52, v69, v9 :: v_dual_add_nc_u32 v39, 0x2240, v27
	s_delay_alu instid0(VALU_DEP_2)
	v_dual_fmac_f32 v64, v72, v63 :: v_dual_add_nc_u32 v43, 0x400, v32
	v_mul_f32_e32 v84, v70, v14
	v_mul_f32_e32 v10, v54, v14
	;; [unrolled: 1-line block ×9, first 2 shown]
	v_fma_f32 v55, v55, v61, -v83
	v_fmac_f32_e32 v62, v71, v61
	v_fma_f32 v61, v56, v63, -v85
	v_fma_f32 v63, v53, v9, -v81
	;; [unrolled: 1-line block ×3, first 2 shown]
	v_dual_fmac_f32 v10, v70, v13 :: v_dual_add_nc_u32 v41, 0x2800, v27
	v_mul_f32_e32 v86, v24, v16
	v_mul_f32_e32 v88, v21, v4
	;; [unrolled: 1-line block ×4, first 2 shown]
	v_fma_f32 v71, v54, v13, -v84
	v_fma_f32 v57, v57, v1, -v87
	;; [unrolled: 1-line block ×6, first 2 shown]
	v_sub_f32_e32 v9, v77, v9
	v_sub_f32_e32 v13, v63, v55
	v_add_nc_u32_e32 v42, 0x400, v31
	v_add_nc_u32_e32 v46, 0x400, v44
	v_fma_f32 v53, v18, v15, -v86
	v_fma_f32 v54, v19, v3, -v88
	v_dual_fmac_f32 v2, v74, v5 :: v_dual_sub_f32 v5, v57, v59
	v_dual_sub_f32 v59, v80, v6 :: v_dual_sub_f32 v6, v58, v60
	v_fma_f32 v60, v77, 2.0, -v9
	v_fma_f32 v63, v63, 2.0, -v13
	v_dual_sub_f32 v55, v10, v64 :: v_dual_add_nc_u32 v38, 0x1c00, v27
	v_add_nc_u32_e32 v40, 0x1500, v27
	v_dual_fmac_f32 v68, v76, v67 :: v_dual_add_nc_u32 v47, 0x400, v45
	v_fmac_f32_e32 v14, v73, v1
	v_sub_f32_e32 v56, v52, v62
	v_dual_sub_f32 v62, v78, v53 :: v_dual_sub_f32 v63, v60, v63
	v_fmac_f32_e32 v66, v75, v65
	v_sub_f32_e32 v1, v71, v61
	v_sub_f32_e32 v61, v79, v54
	s_delay_alu instid0(VALU_DEP_4)
	v_sub_f32_e32 v67, v62, v55
	v_sub_f32_e32 v53, v2, v68
	v_fma_f32 v65, v78, 2.0, -v62
	v_fma_f32 v57, v57, 2.0, -v5
	;; [unrolled: 1-line block ×3, first 2 shown]
	v_sub_f32_e32 v54, v14, v66
	v_fma_f32 v66, v71, 2.0, -v1
	v_fma_f32 v70, v80, 2.0, -v59
	v_fma_f32 v58, v58, 2.0, -v6
	v_dual_sub_f32 v57, v68, v57 :: v_dual_sub_f32 v64, v9, v56
	s_delay_alu instid0(VALU_DEP_4) | instskip(SKIP_1) | instid1(VALU_DEP_4)
	v_sub_f32_e32 v66, v65, v66
	v_sub_f32_e32 v69, v61, v54
	;; [unrolled: 1-line block ×4, first 2 shown]
	v_fma_f32 v9, v9, 2.0, -v64
	v_fma_f32 v60, v60, 2.0, -v63
	;; [unrolled: 1-line block ×8, first 2 shown]
	ds_store_2addr_b32 v47, v63, v64 offset0:48 offset1:200
	ds_store_2addr_b32 v45, v60, v9 offset1:152
	ds_store_2addr_b32 v44, v65, v62 offset1:152
	ds_store_2addr_b32 v46, v66, v67 offset0:48 offset1:200
	ds_store_2addr_b32 v32, v68, v61 offset1:152
	ds_store_2addr_b32 v43, v57, v69 offset0:48 offset1:200
	;; [unrolled: 2-line block ×3, first 2 shown]
	global_wb scope:SCOPE_SE
	s_wait_dscnt 0x0
	s_barrier_signal -1
	s_barrier_wait -1
	global_inv scope:SCOPE_SE
	ds_load_2addr_b32 v[65:66], v35 offset0:32 offset1:222
	ds_load_2addr_b32 v[71:72], v37 offset0:12 offset1:240
	;; [unrolled: 1-line block ×6, first 2 shown]
	ds_load_b32 v165, v27
	ds_load_b32 v167, v28
	ds_load_b32 v169, v30
	v_lshl_add_u32 v9, v36, 2, 0
	s_and_saveexec_b32 s9, s2
	s_cbranch_execz .LBB0_36
; %bb.35:
	ds_load_b32 v154, v29
	ds_load_b32 v159, v9 offset:4712
	ds_load_b32 v160, v9 offset:7144
	;; [unrolled: 1-line block ×4, first 2 shown]
.LBB0_36:
	s_wait_alu 0xfffe
	s_or_b32 exec_lo, exec_lo, s9
	v_mul_f32_e32 v12, v17, v12
	v_fma_f32 v10, v10, 2.0, -v55
	v_fma_f32 v14, v14, 2.0, -v54
	v_fma_f32 v2, v2, 2.0, -v53
	global_wb scope:SCOPE_SE
	s_wait_dscnt 0x0
	v_fmac_f32_e32 v12, v23, v11
	v_fma_f32 v11, v52, 2.0, -v56
	s_barrier_signal -1
	s_barrier_wait -1
	global_inv scope:SCOPE_SE
	v_sub_f32_e32 v12, v50, v12
	v_mul_f32_e32 v16, v18, v16
                                        ; implicit-def: $vgpr162
                                        ; implicit-def: $vgpr161
                                        ; implicit-def: $vgpr163
                                        ; implicit-def: $vgpr164
	s_delay_alu instid0(VALU_DEP_2) | instskip(NEXT) | instid1(VALU_DEP_2)
	v_add_f32_e32 v13, v12, v13
	v_fmac_f32_e32 v16, v24, v15
	s_delay_alu instid0(VALU_DEP_1) | instskip(NEXT) | instid1(VALU_DEP_1)
	v_sub_f32_e32 v15, v51, v16
	v_dual_mul_f32 v8, v20, v8 :: v_dual_add_f32 v1, v15, v1
	s_delay_alu instid0(VALU_DEP_1) | instskip(NEXT) | instid1(VALU_DEP_1)
	v_fmac_f32_e32 v8, v22, v7
	v_sub_f32_e32 v8, v49, v8
	s_delay_alu instid0(VALU_DEP_1) | instskip(NEXT) | instid1(VALU_DEP_1)
	v_dual_mul_f32 v4, v19, v4 :: v_dual_add_f32 v155, v8, v6
	v_fmac_f32_e32 v4, v21, v3
	v_fma_f32 v3, v50, 2.0, -v12
	v_fma_f32 v7, v51, 2.0, -v15
	;; [unrolled: 1-line block ×4, first 2 shown]
	s_delay_alu instid0(VALU_DEP_4) | instskip(NEXT) | instid1(VALU_DEP_4)
	v_dual_sub_f32 v4, v48, v4 :: v_dual_sub_f32 v11, v3, v11
	v_sub_f32_e32 v10, v7, v10
	s_delay_alu instid0(VALU_DEP_4) | instskip(SKIP_1) | instid1(VALU_DEP_4)
	v_sub_f32_e32 v2, v17, v2
	v_fma_f32 v6, v15, 2.0, -v1
	v_fma_f32 v16, v48, 2.0, -v4
	v_add_f32_e32 v5, v4, v5
	v_fma_f32 v3, v3, 2.0, -v11
	v_fma_f32 v7, v7, 2.0, -v10
	;; [unrolled: 1-line block ×3, first 2 shown]
	v_sub_f32_e32 v14, v16, v14
	v_fma_f32 v4, v4, 2.0, -v5
	s_delay_alu instid0(VALU_DEP_2)
	v_fma_f32 v15, v16, 2.0, -v14
	v_fma_f32 v16, v17, 2.0, -v2
	ds_store_2addr_b32 v45, v3, v12 offset1:152
	ds_store_2addr_b32 v47, v11, v13 offset0:48 offset1:200
	ds_store_2addr_b32 v44, v7, v6 offset1:152
	ds_store_2addr_b32 v46, v10, v1 offset0:48 offset1:200
	;; [unrolled: 2-line block ×4, first 2 shown]
	global_wb scope:SCOPE_SE
	s_wait_dscnt 0x0
	s_barrier_signal -1
	s_barrier_wait -1
	global_inv scope:SCOPE_SE
	ds_load_2addr_b32 v[73:74], v35 offset0:32 offset1:222
	ds_load_2addr_b32 v[79:80], v37 offset0:12 offset1:240
	ds_load_2addr_b32 v[77:78], v38 offset0:32 offset1:222
	ds_load_2addr_b32 v[75:76], v39 offset0:12 offset1:240
	ds_load_2addr_b32 v[85:86], v40 offset0:62 offset1:252
	ds_load_2addr_b32 v[87:88], v41 offset0:62 offset1:252
	ds_load_b32 v166, v27
	ds_load_b32 v168, v28
	;; [unrolled: 1-line block ×3, first 2 shown]
	s_and_saveexec_b32 s9, s2
	s_cbranch_execz .LBB0_38
; %bb.37:
	ds_load_b32 v155, v29
	ds_load_b32 v164, v9 offset:4712
	ds_load_b32 v163, v9 offset:7144
	;; [unrolled: 1-line block ×4, first 2 shown]
.LBB0_38:
	s_wait_alu 0xfffe
	s_or_b32 exec_lo, exec_lo, s9
	v_and_b32_e32 v9, 15, v149
	s_load_b64 s[0:1], s[0:1], 0x8
	v_and_b32_e32 v1, 60, v153
	s_delay_alu instid0(VALU_DEP_2)
	v_or_b32_e32 v11, 16, v9
	v_mul_lo_u32 v10, v34, v9
	v_or_b32_e32 v12, 32, v9
	v_or_b32_e32 v13, 48, v9
	;; [unrolled: 1-line block ×3, first 2 shown]
	v_mul_lo_u32 v11, v34, v11
	v_lshlrev_b32_e32 v5, 3, v1
	v_mul_lo_u32 v12, v34, v12
	v_mul_lo_u32 v13, v34, v13
	v_and_b32_e32 v14, 0xff, v10
	v_lshrrev_b32_e32 v15, 5, v10
	v_lshrrev_b32_e32 v10, 13, v10
	v_mul_lo_u32 v9, v34, v9
	v_and_b32_e32 v16, 0xff, v11
	v_lshlrev_b32_e32 v14, 3, v14
	v_lshrrev_b32_e32 v17, 5, v11
	v_and_b32_e32 v15, 0x7f8, v15
	v_lshrrev_b32_e32 v11, 13, v11
	v_and_b32_e32 v10, 0x7f8, v10
	v_and_b32_e32 v18, 0xff, v12
	v_lshlrev_b32_e32 v16, 3, v16
	v_lshrrev_b32_e32 v19, 5, v12
	s_clause 0x1
	global_load_b128 v[1:4], v5, s[10:11] offset:112
	global_load_b128 v[5:8], v5, s[10:11] offset:96
	s_wait_kmcnt 0x0
	s_clause 0x3
	global_load_b64 v[59:60], v14, s[0:1]
	global_load_b64 v[63:64], v15, s[0:1] offset:2048
	global_load_b64 v[51:52], v10, s[0:1] offset:4096
	global_load_b64 v[57:58], v16, s[0:1]
	v_and_b32_e32 v10, 0x7f8, v17
	v_lshrrev_b32_e32 v12, 13, v12
	v_and_b32_e32 v11, 0x7f8, v11
	v_lshlrev_b32_e32 v14, 3, v18
	v_and_b32_e32 v15, 0x7f8, v19
	v_and_b32_e32 v16, 0xff, v13
	s_clause 0x3
	global_load_b64 v[61:62], v10, s[0:1] offset:2048
	global_load_b64 v[53:54], v11, s[0:1] offset:4096
	global_load_b64 v[47:48], v14, s[0:1]
	global_load_b64 v[55:56], v15, s[0:1] offset:2048
	v_and_b32_e32 v10, 0x7f8, v12
	v_lshrrev_b32_e32 v12, 5, v13
	v_lshrrev_b32_e32 v13, 13, v13
	v_and_b32_e32 v14, 0xff, v9
	v_lshrrev_b32_e32 v15, 5, v9
	v_lshrrev_b32_e32 v9, 13, v9
	v_lshlrev_b32_e32 v11, 3, v16
	v_and_b32_e32 v12, 0x7f8, v12
	v_and_b32_e32 v13, 0x7f8, v13
	v_lshlrev_b32_e32 v14, 3, v14
	v_and_b32_e32 v15, 0x7f8, v15
	v_and_b32_e32 v9, 0x7f8, v9
	s_clause 0x6
	global_load_b64 v[49:50], v10, s[0:1] offset:4096
	global_load_b64 v[43:44], v11, s[0:1]
	global_load_b64 v[45:46], v12, s[0:1] offset:2048
	global_load_b64 v[37:38], v13, s[0:1] offset:4096
	global_load_b64 v[39:40], v14, s[0:1]
	global_load_b64 v[41:42], v15, s[0:1] offset:2048
	global_load_b64 v[35:36], v9, s[0:1] offset:4096
	s_and_saveexec_b32 s2, s7
	s_cbranch_execz .LBB0_40
; %bb.39:
	v_and_b32_e32 v9, 60, v156
	v_or_b32_e32 v171, 64, v150
	v_or_b32_e32 v172, 48, v150
	;; [unrolled: 1-line block ×4, first 2 shown]
	v_lshlrev_b32_e32 v9, 3, v9
	v_or_b32_e32 v175, 64, v151
	v_or_b32_e32 v176, 48, v151
	v_mul_lo_u32 v129, v34, v173
	v_mul_lo_u32 v137, v34, v174
	global_load_b128 v[17:20], v9, s[10:11] offset:96
	v_and_b32_e32 v10, 60, v26
	v_mul_lo_u32 v26, v34, v150
	v_and_b32_e32 v29, 15, v152
	v_mul_lo_u32 v175, v34, v175
	v_or_b32_e32 v177, 32, v151
	v_mul_lo_u32 v180, v34, v176
	v_mul_lo_u32 v178, v34, v151
	;; [unrolled: 1-line block ×3, first 2 shown]
	v_or_b32_e32 v179, 16, v151
	v_lshrrev_b32_e32 v28, 5, v26
	v_mul_lo_u32 v181, v34, v177
	v_and_b32_e32 v176, 0xff, v175
	v_lshrrev_b32_e32 v177, 5, v175
	v_lshrrev_b32_e32 v182, 13, v180
	v_and_b32_e32 v183, 0xff, v178
	v_lshrrev_b32_e32 v32, 5, v30
	v_lshrrev_b32_e32 v184, 5, v178
	;; [unrolled: 1-line block ×6, first 2 shown]
	v_lshlrev_b32_e32 v193, 3, v183
	s_wait_loadcnt 0x0
	v_mul_f32_e32 v205, v82, v20
	s_wait_dscnt 0x4
	v_dual_mul_f32 v20, v86, v20 :: v_dual_lshlrev_b32 v21, 3, v10
	v_and_b32_e32 v32, 0x7f8, v32
	s_clause 0x1
	global_load_b128 v[13:16], v9, s[10:11] offset:112
	global_load_b128 v[9:12], v21, s[10:11] offset:112
	v_fmac_f32_e32 v205, v86, v19
	v_and_b32_e32 v27, 0xff, v26
	v_and_b32_e32 v28, 0x7f8, v28
	;; [unrolled: 1-line block ×3, first 2 shown]
	v_lshrrev_b32_e32 v30, 13, v30
	v_lshrrev_b32_e32 v26, 13, v26
	v_fma_f32 v19, v82, v19, -v20
	v_and_b32_e32 v183, 0x7f8, v184
	s_wait_loadcnt 0x1
	v_mul_f32_e32 v206, v84, v16
	global_load_b128 v[21:24], v21, s[10:11] offset:96
	s_wait_dscnt 0x3
	v_dual_mul_f32 v16, v88, v16 :: v_dual_lshlrev_b32 v27, 3, v27
	v_mul_f32_e32 v207, v67, v14
	v_mul_f32_e32 v14, v75, v14
	s_clause 0x1
	global_load_b64 v[89:90], v27, s[0:1]
	global_load_b64 v[91:92], v28, s[0:1] offset:2048
	v_mul_lo_u32 v27, v34, v171
	s_wait_loadcnt 0x3
	v_dual_mul_f32 v208, v83, v12 :: v_dual_lshlrev_b32 v31, 3, v31
	v_mul_f32_e32 v12, v87, v12
	s_clause 0x1
	global_load_b64 v[103:104], v31, s[0:1]
	global_load_b64 v[107:108], v32, s[0:1] offset:2048
	v_and_b32_e32 v93, 0xff, v27
	v_lshrrev_b32_e32 v94, 5, v27
	v_fmac_f32_e32 v206, v88, v15
	v_mul_lo_u32 v28, v34, v172
	v_lshrrev_b32_e32 v27, 13, v27
	v_lshlrev_b32_e32 v93, 3, v93
	v_and_b32_e32 v94, 0x7f8, v94
	s_clause 0x1
	global_load_b64 v[113:114], v93, s[0:1]
	global_load_b64 v[119:120], v94, s[0:1] offset:2048
	v_and_b32_e32 v95, 0xff, v28
	v_or_b32_e32 v93, 32, v29
	v_lshrrev_b32_e32 v96, 5, v28
	v_fmac_f32_e32 v208, v87, v11
	v_fmac_f32_e32 v207, v75, v13
	v_lshlrev_b32_e32 v31, 3, v95
	v_mul_lo_u32 v138, v34, v93
	v_and_b32_e32 v93, 0xff, v129
	v_and_b32_e32 v95, 0xff, v137
	;; [unrolled: 1-line block ×3, first 2 shown]
	v_fma_f32 v13, v67, v13, -v14
	v_fma_f32 v14, v84, v15, -v16
	v_lshrrev_b32_e32 v94, 5, v129
	v_lshlrev_b32_e32 v100, 3, v95
	v_lshrrev_b32_e32 v96, 5, v137
	v_lshlrev_b32_e32 v93, 3, v93
	v_fma_f32 v75, v83, v11, -v12
	v_and_b32_e32 v99, 0x7f8, v94
	v_and_b32_e32 v116, 0xff, v138
	;; [unrolled: 1-line block ×3, first 2 shown]
	v_lshrrev_b32_e32 v117, 5, v138
	v_lshrrev_b32_e32 v28, 13, v28
	;; [unrolled: 1-line block ×3, first 2 shown]
	v_and_b32_e32 v30, 0x7f8, v30
	v_and_b32_e32 v27, 0x7f8, v27
	v_and_b32_e32 v125, 0x7f8, v117
	v_and_b32_e32 v28, 0x7f8, v28
	v_and_b32_e32 v26, 0x7f8, v26
	v_and_b32_e32 v25, 28, v25
	v_lshlrev_b32_e32 v176, 3, v176
	v_and_b32_e32 v177, 0x7f8, v177
	v_and_b32_e32 v186, 0xff, v180
	;; [unrolled: 1-line block ×6, first 2 shown]
	v_lshlrev_b32_e32 v195, 3, v186
	s_wait_loadcnt 0x6
	v_dual_mul_f32 v16, v74, v22 :: v_dual_lshlrev_b32 v197, 3, v188
	s_clause 0x1
	global_load_b64 v[109:110], v31, s[0:1]
	global_load_b64 v[111:112], v32, s[0:1] offset:2048
	v_or_b32_e32 v31, 64, v29
	v_or_b32_e32 v32, 48, v29
	;; [unrolled: 1-line block ×3, first 2 shown]
	s_clause 0x1
	global_load_b64 v[93:94], v93, s[0:1]
	global_load_b64 v[95:96], v99, s[0:1] offset:2048
	v_mul_f32_e32 v67, v66, v22
	v_mul_lo_u32 v31, v34, v31
	v_mul_lo_u32 v32, v34, v32
	;; [unrolled: 1-line block ×3, first 2 shown]
	s_clause 0x1
	global_load_b64 v[99:100], v100, s[0:1]
	global_load_b64 v[105:106], v102, s[0:1] offset:2048
	v_mul_f32_e32 v15, v85, v24
	v_lshlrev_b32_e32 v124, 3, v116
	v_mul_lo_u32 v34, v34, v179
	v_lshrrev_b32_e32 v179, 13, v175
	v_and_b32_e32 v97, 0xff, v31
	v_fmac_f32_e32 v67, v74, v21
	v_and_b32_e32 v102, 0xff, v29
	v_fma_f32 v74, v66, v21, -v16
	v_and_b32_e32 v101, 0xff, v32
	v_lshrrev_b32_e32 v98, 5, v31
	v_lshrrev_b32_e32 v115, 5, v32
	v_lshlrev_b32_e32 v126, 3, v102
	v_lshrrev_b32_e32 v118, 5, v29
	v_dual_sub_f32 v22, v74, v75 :: v_dual_lshlrev_b32 v97, 3, v97
	v_lshlrev_b32_e32 v122, 3, v101
	v_dual_sub_f32 v66, v67, v208 :: v_dual_and_b32 v121, 0x7f8, v98
	v_and_b32_e32 v123, 0x7f8, v115
	v_and_b32_e32 v127, 0x7f8, v118
	s_clause 0x7
	global_load_b64 v[97:98], v97, s[0:1]
	global_load_b64 v[101:102], v121, s[0:1] offset:2048
	global_load_b64 v[115:116], v122, s[0:1]
	global_load_b64 v[121:122], v123, s[0:1] offset:2048
	;; [unrolled: 2-line block ×4, first 2 shown]
	s_wait_loadcnt 0xe
	v_dual_mul_f32 v88, v114, v120 :: v_dual_and_b32 v131, 0x7f8, v129
	s_clause 0x3
	global_load_b64 v[133:134], v30, s[0:1] offset:4096
	global_load_b64 v[129:130], v28, s[0:1] offset:4096
	;; [unrolled: 1-line block ×4, first 2 shown]
	v_lshrrev_b32_e32 v27, 13, v32
	v_lshrrev_b32_e32 v28, 13, v31
	;; [unrolled: 1-line block ×4, first 2 shown]
	v_dual_add_f32 v87, v67, v208 :: v_dual_and_b32 v182, 0x7f8, v179
	v_and_b32_e32 v27, 0x7f8, v27
	v_and_b32_e32 v28, 0x7f8, v28
	s_clause 0x1
	global_load_b64 v[141:142], v27, s[0:1] offset:4096
	global_load_b64 v[143:144], v28, s[0:1] offset:4096
	v_and_b32_e32 v30, 0x7f8, v30
	v_and_b32_e32 v27, 0x7f8, v29
	s_clause 0x1
	global_load_b64 v[145:146], v30, s[0:1] offset:4096
	global_load_b64 v[147:148], v27, s[0:1] offset:4096
	v_lshrrev_b32_e32 v27, 13, v137
	global_load_b64 v[137:138], v26, s[0:1] offset:4096
	v_lshlrev_b32_e32 v29, 3, v25
	v_and_b32_e32 v191, 0xff, v34
	v_lshrrev_b32_e32 v192, 5, v34
	v_and_b32_e32 v27, 0x7f8, v27
	v_lshrrev_b32_e32 v34, 13, v34
	v_and_b32_e32 v196, 0x7f8, v187
	v_and_b32_e32 v199, 0x7f8, v190
	v_lshlrev_b32_e32 v201, 3, v191
	global_load_b64 v[139:140], v27, s[0:1] offset:4096
	s_clause 0x1
	global_load_b128 v[25:28], v29, s[10:11] offset:96
	global_load_b128 v[29:32], v29, s[10:11] offset:112
	s_clause 0x3
	global_load_b64 v[175:176], v176, s[0:1]
	global_load_b64 v[177:178], v177, s[0:1] offset:2048
	global_load_b64 v[179:180], v180, s[0:1] offset:4096
	;; [unrolled: 1-line block ×3, first 2 shown]
	v_and_b32_e32 v200, 0x7f8, v192
	v_and_b32_e32 v34, 0x7f8, v34
	s_clause 0xa
	global_load_b64 v[183:184], v183, s[0:1] offset:2048
	global_load_b64 v[185:186], v193, s[0:1]
	global_load_b64 v[187:188], v194, s[0:1] offset:4096
	global_load_b64 v[189:190], v195, s[0:1]
	global_load_b64 v[191:192], v196, s[0:1] offset:2048
	global_load_b64 v[193:194], v198, s[0:1] offset:2048
	global_load_b64 v[195:196], v197, s[0:1]
	global_load_b64 v[197:198], v199, s[0:1] offset:4096
	global_load_b64 v[199:200], v200, s[0:1] offset:2048
	global_load_b64 v[201:202], v201, s[0:1]
	global_load_b64 v[203:204], v34, s[0:1] offset:4096
	v_mul_f32_e32 v34, v71, v18
	v_mul_f32_e32 v18, v79, v18
	v_fma_f32 v88, v113, v119, -v88
	v_cmp_lt_u32_e64 s0, 0x25f, v0
	s_delay_alu instid0(VALU_DEP_4) | instskip(NEXT) | instid1(VALU_DEP_4)
	v_fmac_f32_e32 v34, v79, v17
	v_fma_f32 v17, v71, v17, -v18
	v_mul_f32_e32 v71, v70, v10
	v_dual_mul_f32 v10, v78, v10 :: v_dual_mul_f32 v79, v81, v24
	s_wait_dscnt 0x0
	s_delay_alu instid0(VALU_DEP_3) | instskip(NEXT) | instid1(VALU_DEP_3)
	v_dual_add_f32 v11, v170, v34 :: v_dual_add_f32 v12, v169, v17
	v_fmac_f32_e32 v71, v78, v9
	s_delay_alu instid0(VALU_DEP_3)
	v_fma_f32 v70, v70, v9, -v10
	v_fmac_f32_e32 v79, v85, v23
	v_fma_f32 v78, v81, v23, -v15
	v_mul_f32_e32 v9, v90, v92
	v_mul_f32_e32 v85, v103, v108
	;; [unrolled: 1-line block ×3, first 2 shown]
	v_sub_f32_e32 v15, v67, v79
	v_sub_f32_e32 v16, v208, v71
	v_add_f32_e32 v18, v79, v71
	v_sub_f32_e32 v20, v74, v78
	v_sub_f32_e32 v23, v75, v70
	;; [unrolled: 1-line block ×3, first 2 shown]
	v_fma_f32 v84, v89, v91, -v9
	v_mul_f32_e32 v9, v104, v108
	v_dual_sub_f32 v86, v71, v208 :: v_dual_fmac_f32 v85, v104, v107
	v_dual_mul_f32 v89, v113, v120 :: v_dual_add_f32 v104, v74, v75
	v_sub_f32_e32 v10, v34, v205
	v_sub_f32_e32 v82, v79, v71
	v_fmac_f32_e32 v81, v90, v91
	v_fma_f32 v9, v103, v107, -v9
	v_sub_f32_e32 v107, v206, v207
	v_sub_f32_e32 v90, v78, v74
	;; [unrolled: 1-line block ×3, first 2 shown]
	v_fmac_f32_e32 v89, v114, v119
	v_add_f32_e32 v108, v205, v207
	v_dual_add_f32 v114, v15, v16 :: v_dual_sub_f32 v15, v17, v19
	v_dual_add_f32 v23, v20, v23 :: v_dual_add_f32 v20, v83, v86
	v_fma_f32 v120, -0.5, v18, v168
	v_fma_f32 v18, -0.5, v104, v167
	v_sub_f32_e32 v83, v14, v13
	v_sub_f32_e32 v21, v78, v70
	v_dual_add_f32 v24, v78, v70 :: v_dual_sub_f32 v113, v19, v13
	v_add_f32_e32 v16, v19, v13
	v_dual_add_f32 v12, v12, v19 :: v_dual_sub_f32 v19, v19, v17
	v_add_f32_e32 v86, v90, v91
	v_add_f32_e32 v91, v10, v107
	v_sub_f32_e32 v107, v17, v14
	v_dual_add_f32 v10, v17, v14 :: v_dual_add_f32 v83, v15, v83
	v_dual_add_f32 v11, v11, v205 :: v_dual_sub_f32 v90, v13, v14
	v_add_f32_e32 v12, v12, v13
	s_delay_alu instid0(VALU_DEP_3) | instskip(SKIP_1) | instid1(VALU_DEP_1)
	v_fma_f32 v119, -0.5, v10, v169
	v_dual_add_f32 v74, v167, v74 :: v_dual_add_f32 v67, v168, v67
	v_add_f32_e32 v67, v67, v79
	s_delay_alu instid0(VALU_DEP_1) | instskip(NEXT) | instid1(VALU_DEP_1)
	v_add_f32_e32 v67, v67, v71
	v_add_f32_e32 v67, v67, v208
	s_wait_loadcnt 0x27
	v_mul_f32_e32 v92, v110, v112
	v_dual_mul_f32 v103, v109, v112 :: v_dual_sub_f32 v112, v207, v206
	s_wait_loadcnt 0x25
	v_mul_f32_e32 v15, v94, v96
	s_delay_alu instid0(VALU_DEP_3) | instskip(NEXT) | instid1(VALU_DEP_3)
	v_fma_f32 v92, v109, v111, -v92
	v_fmac_f32_e32 v103, v110, v111
	v_sub_f32_e32 v109, v34, v206
	v_sub_f32_e32 v111, v205, v34
	v_dual_add_f32 v34, v34, v206 :: v_dual_mul_f32 v17, v93, v96
	v_fma_f32 v96, -0.5, v108, v170
	s_wait_loadcnt 0x23
	v_mul_f32_e32 v108, v100, v106
	v_mul_f32_e32 v106, v99, v106
	v_fma_f32 v34, -0.5, v34, v170
	v_fmac_f32_e32 v17, v94, v95
	v_sub_f32_e32 v110, v205, v207
	s_delay_alu instid0(VALU_DEP_4)
	v_fmac_f32_e32 v106, v100, v105
	s_wait_loadcnt 0x1f
	v_mul_f32_e32 v94, v115, v122
	s_wait_loadcnt 0x1b
	v_mul_f32_e32 v100, v126, v128
	v_add_f32_e32 v111, v111, v112
	v_fma_f32 v112, -0.5, v16, v169
	v_fma_f32 v169, -0.5, v24, v167
	;; [unrolled: 1-line block ×3, first 2 shown]
	v_fma_f32 v87, v99, v105, -v108
	v_mul_f32_e32 v16, v97, v102
	v_fmac_f32_e32 v94, v116, v121
	v_fma_f32 v10, v93, v95, -v15
	v_mul_f32_e32 v15, v98, v102
	v_mul_f32_e32 v93, v116, v122
	s_wait_loadcnt 0x19
	v_dual_mul_f32 v95, v118, v124 :: v_dual_mul_f32 v122, v92, v130
	v_dual_fmamk_f32 v104, v66, 0xbf737871, v169 :: v_dual_mul_f32 v99, v117, v124
	v_fmac_f32_e32 v16, v98, v101
	v_fmamk_f32 v98, v82, 0x3f737871, v18
	v_fmac_f32_e32 v18, 0xbf737871, v82
	s_delay_alu instid0(VALU_DEP_4)
	v_fmac_f32_e32 v104, 0xbf167918, v82
	v_fma_f32 v95, v117, v123, -v95
	v_dual_fmac_f32 v99, v118, v123 :: v_dual_mul_f32 v116, v9, v134
	s_wait_loadcnt 0x18
	v_dual_mul_f32 v117, v89, v136 :: v_dual_fmac_f32 v18, 0x3f167918, v66
	v_mul_f32_e32 v118, v88, v136
	v_fma_f32 v15, v97, v101, -v15
	v_fmamk_f32 v97, v21, 0xbf737871, v24
	v_fmac_f32_e32 v24, 0x3f737871, v21
	s_wait_loadcnt 0x17
	v_mul_f32_e32 v124, v10, v132
	v_fma_f32 v93, v115, v121, -v93
	v_fmamk_f32 v13, v22, 0x3f737871, v120
	v_dual_mul_f32 v121, v103, v130 :: v_dual_fmac_f32 v116, v133, v85
	s_delay_alu instid0(VALU_DEP_4)
	v_dual_mul_f32 v123, v17, v132 :: v_dual_fmac_f32 v124, v131, v17
	v_dual_mul_f32 v102, v125, v128 :: v_dual_add_f32 v11, v11, v207
	v_fmac_f32_e32 v98, 0xbf167918, v66
	v_fmamk_f32 v108, v113, 0xbf737871, v34
	v_fma_f32 v100, v125, v127, -v100
	v_dual_mul_f32 v115, v85, v134 :: v_dual_fmac_f32 v118, v135, v89
	v_dual_add_f32 v125, v12, v14 :: v_dual_fmac_f32 v104, 0x3e9e377a, v23
	v_fmac_f32_e32 v24, 0xbf167918, v22
	s_wait_loadcnt 0x14
	v_dual_fmamk_f32 v105, v109, 0xbf737871, v112 :: v_dual_mul_f32 v12, v99, v146
	v_fma_f32 v85, v135, v88, -v117
	v_fma_f32 v88, v129, v92, -v121
	v_fma_f32 v89, v131, v10, -v123
	v_dual_mul_f32 v17, v15, v144 :: v_dual_fmac_f32 v18, 0x3e9e377a, v86
	v_mul_f32_e32 v10, v94, v142
	v_dual_mul_f32 v92, v93, v142 :: v_dual_fmac_f32 v13, 0x3f167918, v21
	v_fmac_f32_e32 v102, v126, v127
	v_fmamk_f32 v101, v107, 0x3f737871, v96
	v_dual_add_f32 v11, v11, v206 :: v_dual_fmac_f32 v122, v129, v103
	v_fmac_f32_e32 v97, 0x3f167918, v22
	v_fmac_f32_e32 v105, 0xbf167918, v110
	v_fma_f32 v115, v133, v9, -v115
	v_dual_mul_f32 v9, v16, v144 :: v_dual_fmac_f32 v98, 0x3e9e377a, v86
	v_dual_mul_f32 v103, v95, v146 :: v_dual_fmac_f32 v24, 0x3e9e377a, v20
	v_dual_fmac_f32 v17, v143, v16 :: v_dual_fmac_f32 v108, 0x3f167918, v107
	v_fma_f32 v86, v141, v93, -v10
	v_fmac_f32_e32 v92, v141, v94
	v_dual_mul_f32 v10, v125, v116 :: v_dual_fmac_f32 v13, 0x3e9e377a, v114
	s_wait_loadcnt 0x13
	v_dual_mul_f32 v14, v102, v148 :: v_dual_fmac_f32 v101, 0x3f167918, v113
	v_fma_f32 v93, v145, v95, -v12
	v_dual_mul_f32 v12, v104, v118 :: v_dual_fmac_f32 v103, v145, v99
	v_mul_f32_e32 v16, v18, v124
	v_dual_fmac_f32 v10, v11, v115 :: v_dual_fmac_f32 v97, 0x3e9e377a, v20
	s_delay_alu instid0(VALU_DEP_3)
	v_fmac_f32_e32 v12, v13, v85
	v_fma_f32 v20, v143, v15, -v9
	v_dual_mul_f32 v9, v11, v116 :: v_dual_fmac_f32 v108, 0x3e9e377a, v111
	v_dual_mul_f32 v15, v13, v118 :: v_dual_fmac_f32 v16, v24, v89
	v_fmac_f32_e32 v105, 0x3e9e377a, v83
	v_mul_f32_e32 v99, v24, v124
	v_mul_f32_e32 v117, v100, v148
	v_fma_f32 v94, v147, v100, -v14
	v_mul_f32_e32 v14, v98, v122
	v_dual_mul_f32 v95, v97, v122 :: v_dual_mul_f32 v24, v108, v92
	v_fma_f32 v11, v104, v85, -v15
	v_fmac_f32_e32 v101, 0x3e9e377a, v91
	v_fma_f32 v15, v18, v89, -v99
	v_dual_mul_f32 v18, v105, v17 :: v_dual_fmamk_f32 v85, v110, 0x3f737871, v119
	v_dual_fmac_f32 v34, 0x3f737871, v113 :: v_dual_fmac_f32 v169, 0x3f737871, v66
	v_dual_fmac_f32 v117, v147, v102 :: v_dual_fmac_f32 v14, v97, v88
	v_fma_f32 v13, v98, v88, -v95
	v_add_f32_e32 v88, v19, v90
	v_dual_fmac_f32 v18, v101, v20 :: v_dual_fmac_f32 v85, 0xbf167918, v109
	v_dual_fmac_f32 v34, 0xbf167918, v107 :: v_dual_mul_f32 v19, v101, v17
	v_fmac_f32_e32 v120, 0xbf737871, v22
	v_dual_fmac_f32 v119, 0xbf737871, v110 :: v_dual_fmac_f32 v96, 0xbf737871, v107
	s_delay_alu instid0(VALU_DEP_3) | instskip(SKIP_1) | instid1(VALU_DEP_4)
	v_dual_fmac_f32 v85, 0x3e9e377a, v88 :: v_dual_fmac_f32 v34, 0x3e9e377a, v111
	v_fmac_f32_e32 v112, 0x3f737871, v109
	v_fmac_f32_e32 v120, 0xbf167918, v21
	s_delay_alu instid0(VALU_DEP_4)
	v_fmac_f32_e32 v96, 0xbf167918, v113
	s_wait_loadcnt 0x11
	v_mul_f32_e32 v66, v106, v140
	v_mul_f32_e32 v21, v34, v103
	v_dual_fmac_f32 v119, 0x3f167918, v109 :: v_dual_fmac_f32 v112, 0x3f167918, v110
	v_fma_f32 v17, v105, v20, -v19
	v_mul_f32_e32 v20, v85, v92
	v_fma_f32 v19, v85, v86, -v24
	s_delay_alu instid0(VALU_DEP_4) | instskip(SKIP_3) | instid1(VALU_DEP_2)
	v_dual_mul_f32 v85, v84, v138 :: v_dual_fmac_f32 v112, 0x3e9e377a, v83
	v_mul_f32_e32 v83, v81, v138
	v_dual_fmac_f32 v119, 0x3e9e377a, v88 :: v_dual_fmac_f32 v96, 0x3e9e377a, v91
	v_dual_fmac_f32 v169, 0x3f167918, v82 :: v_dual_mul_f32 v82, v87, v140
	v_dual_fmac_f32 v85, v137, v81 :: v_dual_mul_f32 v22, v119, v103
	s_delay_alu instid0(VALU_DEP_2) | instskip(NEXT) | instid1(VALU_DEP_4)
	v_dual_fmac_f32 v120, 0x3e9e377a, v114 :: v_dual_fmac_f32 v169, 0x3e9e377a, v23
	v_mul_f32_e32 v23, v96, v117
	v_mul_f32_e32 v24, v112, v117
	s_wait_loadcnt 0x10
	v_dual_fmac_f32 v22, v34, v93 :: v_dual_mul_f32 v79, v72, v28
	v_fmac_f32_e32 v82, v139, v106
	v_fma_f32 v34, v139, v87, -v66
	v_fmac_f32_e32 v24, v96, v94
	v_fmac_f32_e32 v20, v108, v86
	v_dual_fmac_f32 v79, v80, v27 :: v_dual_add_f32 v74, v74, v78
	v_mul_f32_e32 v28, v80, v28
	v_mul_f32_e32 v66, v169, v82
	v_fma_f32 v83, v137, v84, -v83
	v_fma_f32 v9, v125, v115, -v9
	;; [unrolled: 1-line block ×4, first 2 shown]
	v_add_f32_e32 v27, v74, v70
	v_mul_f32_e32 v70, v65, v26
	s_wait_loadcnt 0xf
	v_mul_f32_e32 v72, v69, v30
	v_mul_f32_e32 v74, v68, v32
	;; [unrolled: 1-line block ×4, first 2 shown]
	v_fmac_f32_e32 v70, v73, v25
	v_mul_f32_e32 v32, v76, v32
	v_dual_fmac_f32 v66, v120, v34 :: v_dual_add_f32 v27, v27, v75
	v_fma_f32 v73, v69, v29, -v28
	v_fma_f32 v69, v65, v25, -v30
	s_delay_alu instid0(VALU_DEP_4)
	v_fma_f32 v75, v68, v31, -v32
	v_mul_f32_e32 v78, v120, v82
	s_wait_loadcnt 0xd
	v_mul_f32_e32 v65, v175, v178
	v_dual_add_f32 v25, v71, v73 :: v_dual_sub_f32 v68, v69, v71
	v_sub_f32_e32 v88, v73, v75
	v_sub_f32_e32 v80, v75, v73
	s_delay_alu instid0(VALU_DEP_4) | instskip(SKIP_1) | instid1(VALU_DEP_3)
	v_fmac_f32_e32 v65, v176, v177
	v_fma_f32 v21, v119, v93, -v21
	v_add_f32_e32 v68, v68, v80
	v_dual_fmac_f32 v74, v76, v31 :: v_dual_sub_f32 v31, v71, v73
	v_fmac_f32_e32 v72, v77, v29
	v_fma_f32 v77, -0.5, v25, v165
	v_mul_f32_e32 v25, v176, v178
	s_delay_alu instid0(VALU_DEP_3) | instskip(NEXT) | instid1(VALU_DEP_2)
	v_dual_sub_f32 v32, v70, v74 :: v_dual_add_f32 v29, v79, v72
	v_fma_f32 v25, v175, v177, -v25
	s_delay_alu instid0(VALU_DEP_2) | instskip(NEXT) | instid1(VALU_DEP_3)
	v_fmamk_f32 v81, v32, 0xbf737871, v77
	v_fma_f32 v76, -0.5, v29, v166
	v_dual_sub_f32 v29, v69, v75 :: v_dual_sub_f32 v82, v79, v72
	s_wait_loadcnt 0xb
	v_mul_f32_e32 v80, v25, v182
	s_delay_alu instid0(VALU_DEP_2) | instskip(NEXT) | instid1(VALU_DEP_1)
	v_dual_fmac_f32 v81, 0xbf167918, v82 :: v_dual_sub_f32 v28, v70, v79
	v_dual_fmac_f32 v80, v181, v65 :: v_dual_fmac_f32 v81, 0x3e9e377a, v68
	v_sub_f32_e32 v30, v74, v72
	s_delay_alu instid0(VALU_DEP_1)
	v_add_f32_e32 v86, v28, v30
	v_mul_f32_e32 v28, v65, v182
	v_fma_f32 v65, v169, v34, -v78
	v_sub_f32_e32 v78, v72, v74
	v_fmamk_f32 v84, v29, 0x3f737871, v76
	v_mul_f32_e32 v30, v67, v85
	v_fma_f32 v87, v181, v25, -v28
	v_mul_f32_e32 v28, v81, v80
	v_fmac_f32_e32 v76, 0xbf737871, v29
	v_fmac_f32_e32 v84, 0x3f167918, v31
	v_fma_f32 v25, v27, v83, -v30
	v_add_f32_e32 v30, v69, v75
	s_delay_alu instid0(VALU_DEP_4) | instskip(NEXT) | instid1(VALU_DEP_4)
	v_fmac_f32_e32 v76, 0xbf167918, v31
	v_fmac_f32_e32 v84, 0x3e9e377a, v86
	s_delay_alu instid0(VALU_DEP_1) | instskip(SKIP_4) | instid1(VALU_DEP_2)
	v_fmac_f32_e32 v28, v84, v87
	v_mul_f32_e32 v34, v84, v80
	v_fma_f32 v84, -0.5, v30, v165
	v_dual_mul_f32 v26, v27, v85 :: v_dual_add_f32 v27, v70, v74
	v_cndmask_b32_e64 v85, 0, 0x50, s0
	v_fma_f32 v80, -0.5, v27, v166
	s_wait_loadcnt 0x6
	v_mul_f32_e32 v27, v190, v192
	s_delay_alu instid0(VALU_DEP_2) | instskip(NEXT) | instid1(VALU_DEP_2)
	v_fmamk_f32 v91, v31, 0xbf737871, v80
	v_fma_f32 v90, v189, v191, -v27
	v_fma_f32 v27, v81, v87, -v34
	s_wait_loadcnt 0x4
	v_dual_mul_f32 v81, v196, v194 :: v_dual_fmac_f32 v80, 0x3f737871, v31
	v_fmac_f32_e32 v91, 0x3f167918, v29
	v_fmamk_f32 v89, v82, 0x3f737871, v84
	v_fmac_f32_e32 v84, 0xbf737871, v82
	s_delay_alu instid0(VALU_DEP_4)
	v_fma_f32 v81, v195, v193, -v81
	v_fmac_f32_e32 v26, v67, v83
	v_or_b32_e32 v83, v151, v85
	v_sub_f32_e32 v85, v71, v69
	v_fmac_f32_e32 v89, 0xbf167918, v32
	v_dual_fmac_f32 v84, 0x3f167918, v32 :: v_dual_sub_f32 v67, v79, v70
	s_delay_alu instid0(VALU_DEP_3) | instskip(SKIP_2) | instid1(VALU_DEP_3)
	v_dual_fmac_f32 v80, 0xbf167918, v29 :: v_dual_add_f32 v85, v85, v88
	v_dual_mul_f32 v34, v195, v194 :: v_dual_fmac_f32 v77, 0x3f737871, v32
	v_dual_add_f32 v69, v165, v69 :: v_dual_mul_f32 v88, v90, v180
	v_fmac_f32_e32 v89, 0x3e9e377a, v85
	s_wait_loadcnt 0x1
	v_dual_fmac_f32 v84, 0x3e9e377a, v85 :: v_dual_mul_f32 v85, v201, v200
	v_dual_fmac_f32 v34, v196, v193 :: v_dual_fmac_f32 v77, 0x3f167918, v82
	v_dual_add_f32 v71, v69, v71 :: v_dual_add_f32 v70, v166, v70
	s_delay_alu instid0(VALU_DEP_3) | instskip(NEXT) | instid1(VALU_DEP_3)
	v_fmac_f32_e32 v85, v202, v199
	v_mul_f32_e32 v87, v34, v198
	s_delay_alu instid0(VALU_DEP_4) | instskip(NEXT) | instid1(VALU_DEP_4)
	v_fmac_f32_e32 v77, 0x3e9e377a, v68
	v_add_f32_e32 v71, v71, v73
	s_wait_loadcnt 0x0
	v_mul_f32_e32 v29, v85, v204
	v_add_f32_e32 v67, v67, v78
	v_fma_f32 v87, v197, v81, -v87
	v_mul_f32_e32 v81, v81, v198
	s_delay_alu instid0(VALU_DEP_3) | instskip(SKIP_2) | instid1(VALU_DEP_4)
	v_fmac_f32_e32 v91, 0x3e9e377a, v67
	v_dual_fmac_f32 v80, 0x3e9e377a, v67 :: v_dual_mul_f32 v67, v202, v200
	v_fmac_f32_e32 v76, 0x3e9e377a, v86
	v_fmac_f32_e32 v81, v197, v34
	v_mul_f32_e32 v30, v189, v192
	s_delay_alu instid0(VALU_DEP_4) | instskip(NEXT) | instid1(VALU_DEP_2)
	v_fma_f32 v67, v201, v199, -v67
	v_dual_mul_f32 v31, v80, v81 :: v_dual_fmac_f32 v30, v190, v191
	v_mul_f32_e32 v32, v84, v81
	s_delay_alu instid0(VALU_DEP_3) | instskip(SKIP_1) | instid1(VALU_DEP_4)
	v_mul_f32_e32 v82, v67, v204
	v_fma_f32 v34, v203, v67, -v29
	v_mul_f32_e32 v78, v30, v180
	v_fmac_f32_e32 v88, v179, v30
	s_delay_alu instid0(VALU_DEP_4) | instskip(SKIP_3) | instid1(VALU_DEP_4)
	v_fmac_f32_e32 v82, v203, v85
	v_fmac_f32_e32 v32, v80, v87
	v_add_f32_e32 v80, v71, v75
	v_fma_f32 v78, v179, v90, -v78
	v_mul_f32_e32 v68, v77, v82
	v_mul_f32_e32 v67, v76, v82
	s_delay_alu instid0(VALU_DEP_2) | instskip(NEXT) | instid1(VALU_DEP_2)
	v_fmac_f32_e32 v68, v76, v34
	v_fma_f32 v67, v77, v34, -v67
	v_dual_add_f32 v77, v70, v79 :: v_dual_add_nc_u32 v34, s6, v33
	v_mul_f32_e32 v30, v89, v88
	v_mul_f32_e32 v76, v186, v184
	s_delay_alu instid0(VALU_DEP_3) | instskip(NEXT) | instid1(VALU_DEP_4)
	v_add_f32_e32 v72, v77, v72
	v_mad_co_u64_u32 v[69:70], null, s8, v83, v[34:35]
	v_mov_b32_e32 v70, 0
	v_mul_f32_e32 v88, v91, v88
	v_fmac_f32_e32 v30, v91, v78
	v_fma_f32 v76, v185, v183, -v76
	s_delay_alu instid0(VALU_DEP_3) | instskip(SKIP_1) | instid1(VALU_DEP_1)
	v_fma_f32 v29, v89, v78, -v88
	v_mul_f32_e32 v78, v185, v184
	v_dual_mul_f32 v79, v188, v76 :: v_dual_fmac_f32 v78, v183, v186
	s_delay_alu instid0(VALU_DEP_1) | instskip(NEXT) | instid1(VALU_DEP_2)
	v_mul_f32_e32 v73, v188, v78
	v_fmac_f32_e32 v79, v187, v78
	v_add_f32_e32 v78, v72, v74
	v_lshlrev_b64_e32 v[71:72], 3, v[69:70]
	v_add_nc_u32_e32 v69, 16, v83
	v_fma_f32 v81, v187, v76, -v73
	v_mul_f32_e32 v73, v80, v79
	v_mul_f32_e32 v79, v78, v79
	s_delay_alu instid0(VALU_DEP_4)
	v_mad_co_u64_u32 v[74:75], null, s8, v69, v[34:35]
	v_mov_b32_e32 v75, v70
	v_or_b32_e32 v69, 32, v83
	v_add_co_u32 v76, s0, s4, v71
	s_wait_alu 0xf1ff
	v_add_co_ci_u32_e64 v77, s0, s5, v72, s0
	v_lshlrev_b64_e32 v[74:75], 3, v[74:75]
	v_add_nc_u32_e32 v71, 48, v83
	v_fmac_f32_e32 v73, v78, v81
	v_fma_f32 v72, v80, v81, -v79
	v_mad_co_u64_u32 v[78:79], null, s8, v69, v[34:35]
	v_add_co_u32 v74, s0, s4, v74
	s_wait_alu 0xf1ff
	v_add_co_ci_u32_e64 v75, s0, s5, v75, s0
	v_add_nc_u32_e32 v69, 64, v83
	v_mad_co_u64_u32 v[80:81], null, s8, v71, v[34:35]
	v_mov_b32_e32 v79, v70
	v_mov_b32_e32 v81, v70
	s_clause 0x1
	global_store_b64 v[76:77], v[72:73], off
	global_store_b64 v[74:75], v[67:68], off
	v_mad_co_u64_u32 v[73:74], null, s8, v69, v[34:35]
	v_lshlrev_b64_e32 v[67:68], 3, v[78:79]
	v_mov_b32_e32 v74, v70
	v_mad_co_u64_u32 v[75:76], null, s8, v150, v[34:35]
	v_lshlrev_b64_e32 v[71:72], 3, v[80:81]
	v_mov_b32_e32 v76, v70
	v_add_co_u32 v67, s0, s4, v67
	v_lshlrev_b64_e32 v[73:74], 3, v[73:74]
	s_wait_alu 0xf1ff
	v_add_co_ci_u32_e64 v68, s0, s5, v68, s0
	v_add_co_u32 v71, s0, s4, v71
	v_lshlrev_b64_e32 v[75:76], 3, v[75:76]
	s_wait_alu 0xf1ff
	v_add_co_ci_u32_e64 v72, s0, s5, v72, s0
	v_mad_co_u64_u32 v[77:78], null, s8, v174, v[34:35]
	v_add_co_u32 v73, s0, s4, v73
	v_fma_f32 v31, v84, v87, -v31
	s_wait_alu 0xf1ff
	v_add_co_ci_u32_e64 v74, s0, s5, v74, s0
	v_mov_b32_e32 v78, v70
	v_add_co_u32 v75, s0, s4, v75
	s_wait_alu 0xf1ff
	v_add_co_ci_u32_e64 v76, s0, s5, v76, s0
	s_clause 0x3
	global_store_b64 v[67:68], v[31:32], off
	global_store_b64 v[71:72], v[29:30], off
	;; [unrolled: 1-line block ×4, first 2 shown]
	v_lshlrev_b64_e32 v[25:26], 3, v[77:78]
	v_mad_co_u64_u32 v[27:28], null, s8, v173, v[34:35]
	v_mov_b32_e32 v28, v70
	v_mad_co_u64_u32 v[29:30], null, s8, v172, v[34:35]
	s_delay_alu instid0(VALU_DEP_4)
	v_add_co_u32 v25, s0, s4, v25
	s_wait_alu 0xf1ff
	v_add_co_ci_u32_e64 v26, s0, s5, v26, s0
	v_mov_b32_e32 v30, v70
	v_lshlrev_b64_e32 v[27:28], 3, v[27:28]
	v_mad_co_u64_u32 v[31:32], null, s8, v171, v[34:35]
	global_store_b64 v[25:26], v[65:66], off
	v_lshlrev_b64_e32 v[25:26], 3, v[29:30]
	v_mov_b32_e32 v32, v70
	v_add_co_u32 v27, s0, s4, v27
	s_wait_alu 0xf1ff
	v_add_co_ci_u32_e64 v28, s0, s5, v28, s0
	s_delay_alu instid0(VALU_DEP_4)
	v_add_co_u32 v25, s0, s4, v25
	v_and_or_b32 v65, v156, 64, v152
	s_wait_alu 0xf1ff
	v_add_co_ci_u32_e64 v26, s0, s5, v26, s0
	v_lshlrev_b64_e32 v[29:30], 3, v[31:32]
	s_clause 0x1
	global_store_b64 v[27:28], v[15:16], off
	global_store_b64 v[25:26], v[13:14], off
	v_add_nc_u32_e32 v13, 16, v65
	v_mad_co_u64_u32 v[31:32], null, s8, v65, v[34:35]
	v_add_co_u32 v29, s0, s4, v29
	v_or_b32_e32 v15, 32, v65
	s_wait_alu 0xf1ff
	v_add_co_ci_u32_e64 v30, s0, s5, v30, s0
	v_mov_b32_e32 v32, v70
	v_mad_co_u64_u32 v[13:14], null, s8, v13, v[34:35]
	v_dual_mov_b32 v14, v70 :: v_dual_add_nc_u32 v25, 48, v65
	v_mad_co_u64_u32 v[15:16], null, s8, v15, v[34:35]
	v_add_nc_u32_e32 v27, 64, v65
	global_store_b64 v[29:30], v[11:12], off
	v_lshlrev_b64_e32 v[11:12], 3, v[31:32]
	v_mov_b32_e32 v16, v70
	v_mad_co_u64_u32 v[25:26], null, s8, v25, v[34:35]
	v_lshlrev_b64_e32 v[13:14], 3, v[13:14]
	v_mov_b32_e32 v26, v70
	v_mad_co_u64_u32 v[27:28], null, s8, v27, v[34:35]
	v_add_co_u32 v11, s0, s4, v11
	v_lshlrev_b64_e32 v[15:16], 3, v[15:16]
	v_mov_b32_e32 v28, v70
	s_wait_alu 0xf1ff
	v_add_co_ci_u32_e64 v12, s0, s5, v12, s0
	v_add_co_u32 v13, s0, s4, v13
	v_lshlrev_b64_e32 v[25:26], 3, v[25:26]
	s_wait_alu 0xf1ff
	v_add_co_ci_u32_e64 v14, s0, s5, v14, s0
	v_add_co_u32 v15, s0, s4, v15
	v_lshlrev_b64_e32 v[27:28], 3, v[27:28]
	s_wait_alu 0xf1ff
	v_add_co_ci_u32_e64 v16, s0, s5, v16, s0
	v_add_co_u32 v25, s0, s4, v25
	s_wait_alu 0xf1ff
	v_add_co_ci_u32_e64 v26, s0, s5, v26, s0
	v_add_co_u32 v27, s0, s4, v27
	s_wait_alu 0xf1ff
	v_add_co_ci_u32_e64 v28, s0, s5, v28, s0
	s_clause 0x4
	global_store_b64 v[11:12], v[9:10], off
	global_store_b64 v[13:14], v[23:24], off
	;; [unrolled: 1-line block ×5, first 2 shown]
.LBB0_40:
	s_wait_alu 0xfffe
	s_or_b32 exec_lo, exec_lo, s2
	v_cmp_gt_u32_e64 s1, 38, v0
	v_cmp_lt_u32_e64 s0, 37, v0
	v_cndmask_b32_e64 v9, 0, 1, vcc_lo
	s_wait_alu 0xf1ff
	s_delay_alu instid0(VALU_DEP_3) | instskip(NEXT) | instid1(VALU_DEP_3)
	v_cndmask_b32_e64 v0, 0, 1, s1
	s_or_b32 vcc_lo, s0, s3
	s_mov_b32 s0, exec_lo
	s_wait_alu 0xfffe
	s_delay_alu instid0(VALU_DEP_1) | instskip(NEXT) | instid1(VALU_DEP_1)
	v_cndmask_b32_e32 v0, v9, v0, vcc_lo
	v_and_b32_e32 v0, 1, v0
	s_delay_alu instid0(VALU_DEP_1)
	v_cmpx_eq_u32_e32 1, v0
	s_cbranch_execz .LBB0_42
; %bb.41:
	s_wait_loadcnt_dscnt 0xf01
	v_dual_mul_f32 v0, v163, v8 :: v_dual_mul_f32 v9, v161, v2
	v_dual_mul_f32 v10, v164, v6 :: v_dual_mul_f32 v11, v157, v4
	v_mul_f32_e32 v8, v160, v8
	s_delay_alu instid0(VALU_DEP_3)
	v_fma_f32 v0, v160, v7, -v0
	v_mul_f32_e32 v2, v158, v2
	v_fma_f32 v9, v158, v1, -v9
	v_mul_f32_e32 v6, v159, v6
	v_fma_f32 v10, v159, v5, -v10
	s_wait_dscnt 0x0
	v_dual_fmac_f32 v11, v162, v3 :: v_dual_fmac_f32 v2, v161, v1
	v_mul_f32_e32 v4, v162, v4
	v_fmac_f32_e32 v6, v164, v5
	v_add_f32_e32 v5, v0, v9
	v_and_or_b32 v19, v153, 64, v149
	s_delay_alu instid0(VALU_DEP_4) | instskip(SKIP_1) | instid1(VALU_DEP_4)
	v_fma_f32 v1, v157, v3, -v4
	v_dual_fmac_f32 v8, v163, v7 :: v_dual_add_f32 v7, v154, v10
	v_fma_f32 v13, -0.5, v5, v154
	s_delay_alu instid0(VALU_DEP_3) | instskip(SKIP_1) | instid1(VALU_DEP_4)
	v_dual_sub_f32 v5, v6, v11 :: v_dual_sub_f32 v14, v1, v9
	v_add_f32_e32 v15, v10, v1
	v_add_f32_e32 v3, v7, v0
	s_delay_alu instid0(VALU_DEP_3) | instskip(SKIP_2) | instid1(VALU_DEP_4)
	v_dual_add_f32 v17, v155, v6 :: v_dual_fmamk_f32 v4, v5, 0x3f737871, v13
	v_fmac_f32_e32 v13, 0xbf737871, v5
	v_sub_f32_e32 v16, v9, v1
	v_dual_add_f32 v3, v3, v9 :: v_dual_sub_f32 v12, v10, v0
	v_dual_fmac_f32 v154, -0.5, v15 :: v_dual_sub_f32 v15, v0, v10
	v_sub_f32_e32 v7, v8, v2
	s_delay_alu instid0(VALU_DEP_3) | instskip(SKIP_2) | instid1(VALU_DEP_4)
	v_dual_add_f32 v3, v3, v1 :: v_dual_add_f32 v12, v12, v14
	v_sub_f32_e32 v1, v10, v1
	v_add_f32_e32 v10, v6, v11
	v_fmac_f32_e32 v4, 0x3f167918, v7
	v_dual_fmac_f32 v13, 0xbf167918, v7 :: v_dual_add_f32 v18, v8, v2
	v_add_f32_e32 v15, v15, v16
	v_fmamk_f32 v14, v7, 0xbf737871, v154
	s_delay_alu instid0(VALU_DEP_4)
	v_fmac_f32_e32 v4, 0x3e9e377a, v12
	v_dual_fmac_f32 v154, 0x3f737871, v7 :: v_dual_add_f32 v7, v17, v8
	v_fmac_f32_e32 v13, 0x3e9e377a, v12
	v_fma_f32 v16, -0.5, v18, v155
	v_fmac_f32_e32 v14, 0x3f167918, v5
	v_sub_f32_e32 v12, v11, v2
	v_dual_sub_f32 v0, v0, v9 :: v_dual_sub_f32 v9, v6, v8
	v_dual_fmac_f32 v154, 0xbf167918, v5 :: v_dual_add_f32 v5, v7, v2
	v_fmamk_f32 v7, v1, 0xbf737871, v16
	v_dual_fmac_f32 v14, 0x3e9e377a, v15 :: v_dual_fmac_f32 v155, -0.5, v10
	s_delay_alu instid0(VALU_DEP_4) | instskip(SKIP_2) | instid1(VALU_DEP_3)
	v_dual_add_f32 v9, v9, v12 :: v_dual_sub_f32 v6, v8, v6
	s_wait_loadcnt 0x7
	v_dual_fmac_f32 v16, 0x3f737871, v1 :: v_dual_mul_f32 v17, v47, v56
	v_fmamk_f32 v10, v0, 0x3f737871, v155
	v_dual_fmac_f32 v155, 0xbf737871, v0 :: v_dual_sub_f32 v2, v2, v11
	v_fmac_f32_e32 v7, 0xbf167918, v0
	v_add_f32_e32 v5, v5, v11
	v_fmac_f32_e32 v154, 0x3e9e377a, v15
	s_delay_alu instid0(VALU_DEP_4) | instskip(SKIP_3) | instid1(VALU_DEP_4)
	v_dual_fmac_f32 v155, 0x3f167918, v1 :: v_dual_add_f32 v2, v6, v2
	v_mul_f32_e32 v8, v60, v64
	v_dual_mul_f32 v6, v59, v64 :: v_dual_fmac_f32 v7, 0x3e9e377a, v9
	v_fmac_f32_e32 v17, v48, v55
	v_fmac_f32_e32 v155, 0x3e9e377a, v2
	v_add_nc_u32_e32 v21, 64, v19
	s_delay_alu instid0(VALU_DEP_4) | instskip(SKIP_3) | instid1(VALU_DEP_2)
	v_fmac_f32_e32 v6, v60, v63
	v_dual_fmac_f32 v10, 0xbf167918, v1 :: v_dual_mul_f32 v1, v58, v62
	v_fmac_f32_e32 v16, 0x3f167918, v0
	v_fma_f32 v0, v59, v63, -v8
	v_dual_mul_f32 v11, v6, v52 :: v_dual_fmac_f32 v16, 0x3e9e377a, v9
	s_delay_alu instid0(VALU_DEP_2) | instskip(NEXT) | instid1(VALU_DEP_1)
	v_dual_mul_f32 v8, v0, v52 :: v_dual_mul_f32 v9, v57, v62
	v_dual_fmac_f32 v8, v51, v6 :: v_dual_fmac_f32 v9, v58, v61
	v_fmac_f32_e32 v10, 0x3e9e377a, v2
	v_fma_f32 v2, v57, v61, -v1
	v_fma_f32 v6, v51, v0, -v11
	s_delay_alu instid0(VALU_DEP_4) | instskip(SKIP_1) | instid1(VALU_DEP_4)
	v_mul_f32_e32 v1, v3, v8
	v_dual_mul_f32 v0, v48, v56 :: v_dual_mul_f32 v15, v9, v54
	v_mul_f32_e32 v11, v2, v54
	s_delay_alu instid0(VALU_DEP_3) | instskip(NEXT) | instid1(VALU_DEP_3)
	v_fmac_f32_e32 v1, v5, v6
	v_fma_f32 v18, v47, v55, -v0
	s_delay_alu instid0(VALU_DEP_3)
	v_fmac_f32_e32 v11, v53, v9
	v_mul_f32_e32 v12, v5, v8
	v_fma_f32 v8, v53, v2, -v15
	s_wait_loadcnt 0x6
	v_mul_f32_e32 v9, v18, v50
	v_dual_mul_f32 v5, v17, v50 :: v_dual_mul_f32 v2, v7, v11
	v_fma_f32 v0, v3, v6, -v12
	s_wait_loadcnt 0x4
	s_delay_alu instid0(VALU_DEP_3) | instskip(SKIP_3) | instid1(VALU_DEP_4)
	v_dual_mul_f32 v6, v44, v46 :: v_dual_fmac_f32 v9, v49, v17
	v_mul_f32_e32 v3, v4, v11
	v_fma_f32 v11, v49, v18, -v5
	v_mul_f32_e32 v12, v43, v46
	v_fma_f32 v6, v43, v45, -v6
	s_wait_loadcnt 0x1
	v_mul_f32_e32 v5, v40, v42
	v_fma_f32 v2, v4, v8, -v2
	v_dual_mul_f32 v4, v10, v9 :: v_dual_fmac_f32 v3, v7, v8
	v_mul_f32_e32 v7, v6, v38
	s_delay_alu instid0(VALU_DEP_4) | instskip(SKIP_4) | instid1(VALU_DEP_4)
	v_fma_f32 v15, v39, v41, -v5
	v_mul_f32_e32 v5, v14, v9
	v_fmac_f32_e32 v12, v44, v45
	v_mul_f32_e32 v8, v39, v42
	v_fma_f32 v4, v14, v11, -v4
	v_fmac_f32_e32 v5, v10, v11
	s_delay_alu instid0(VALU_DEP_4)
	v_fmac_f32_e32 v7, v37, v12
	v_mul_f32_e32 v9, v12, v38
	v_fmac_f32_e32 v8, v40, v41
	s_wait_loadcnt 0x0
	v_mul_f32_e32 v12, v15, v36
	v_mul_f32_e32 v14, v155, v7
	v_fma_f32 v11, v37, v6, -v9
	v_dual_mul_f32 v9, v8, v36 :: v_dual_add_nc_u32 v6, s6, v33
	s_delay_alu instid0(VALU_DEP_4) | instskip(SKIP_1) | instid1(VALU_DEP_3)
	v_fmac_f32_e32 v12, v35, v8
	v_mul_f32_e32 v8, v154, v7
	v_fma_f32 v15, v35, v15, -v9
	s_delay_alu instid0(VALU_DEP_4) | instskip(NEXT) | instid1(VALU_DEP_4)
	v_mad_co_u64_u32 v[9:10], null, s8, v19, v[6:7]
	v_dual_mul_f32 v17, v16, v12 :: v_dual_mov_b32 v10, 0
	v_fma_f32 v7, v154, v11, -v14
	v_fmac_f32_e32 v8, v155, v11
	s_delay_alu instid0(VALU_DEP_3) | instskip(SKIP_4) | instid1(VALU_DEP_4)
	v_fma_f32 v11, v13, v15, -v17
	v_dual_mul_f32 v12, v13, v12 :: v_dual_add_nc_u32 v17, 16, v19
	v_lshlrev_b64_e32 v[13:14], 3, v[9:10]
	v_or_b32_e32 v9, 32, v19
	v_mad_co_u64_u32 v[21:22], null, s8, v21, v[6:7]
	v_fmac_f32_e32 v12, v16, v15
	v_mad_co_u64_u32 v[15:16], null, s8, v17, v[6:7]
	v_mov_b32_e32 v16, v10
	v_mad_co_u64_u32 v[17:18], null, s8, v9, v[6:7]
	v_dual_mov_b32 v18, v10 :: v_dual_add_nc_u32 v9, 48, v19
	v_add_co_u32 v13, vcc_lo, s4, v13
	s_delay_alu instid0(VALU_DEP_4) | instskip(NEXT) | instid1(VALU_DEP_3)
	v_lshlrev_b64_e32 v[15:16], 3, v[15:16]
	v_mad_co_u64_u32 v[19:20], null, s8, v9, v[6:7]
	s_delay_alu instid0(VALU_DEP_4)
	v_lshlrev_b64_e32 v[17:18], 3, v[17:18]
	v_mov_b32_e32 v20, v10
	s_wait_alu 0xfffd
	v_add_co_ci_u32_e32 v14, vcc_lo, s5, v14, vcc_lo
	v_add_co_u32 v15, vcc_lo, s4, v15
	v_mov_b32_e32 v22, v10
	s_wait_alu 0xfffd
	v_add_co_ci_u32_e32 v16, vcc_lo, s5, v16, vcc_lo
	v_lshlrev_b64_e32 v[19:20], 3, v[19:20]
	v_add_co_u32 v9, vcc_lo, s4, v17
	s_wait_alu 0xfffd
	v_add_co_ci_u32_e32 v10, vcc_lo, s5, v18, vcc_lo
	v_lshlrev_b64_e32 v[17:18], 3, v[21:22]
	s_delay_alu instid0(VALU_DEP_4) | instskip(SKIP_2) | instid1(VALU_DEP_3)
	v_add_co_u32 v19, vcc_lo, s4, v19
	s_wait_alu 0xfffd
	v_add_co_ci_u32_e32 v20, vcc_lo, s5, v20, vcc_lo
	v_add_co_u32 v17, vcc_lo, s4, v17
	s_wait_alu 0xfffd
	v_add_co_ci_u32_e32 v18, vcc_lo, s5, v18, vcc_lo
	s_clause 0x4
	global_store_b64 v[13:14], v[0:1], off
	global_store_b64 v[15:16], v[2:3], off
	;; [unrolled: 1-line block ×5, first 2 shown]
.LBB0_42:
	s_nop 0
	s_sendmsg sendmsg(MSG_DEALLOC_VGPRS)
	s_endpgm
	.section	.rodata,"a",@progbits
	.p2align	6, 0x0
	.amdhsa_kernel fft_rtc_fwd_len80_factors_4_4_5_wgs_190_tpt_5_halfLds_dim2_sp_ip_CI_sbcc_twdbase8_3step_dirReg_intrinsicReadWrite
		.amdhsa_group_segment_fixed_size 0
		.amdhsa_private_segment_fixed_size 0
		.amdhsa_kernarg_size 88
		.amdhsa_user_sgpr_count 2
		.amdhsa_user_sgpr_dispatch_ptr 0
		.amdhsa_user_sgpr_queue_ptr 0
		.amdhsa_user_sgpr_kernarg_segment_ptr 1
		.amdhsa_user_sgpr_dispatch_id 0
		.amdhsa_user_sgpr_private_segment_size 0
		.amdhsa_wavefront_size32 1
		.amdhsa_uses_dynamic_stack 0
		.amdhsa_enable_private_segment 0
		.amdhsa_system_sgpr_workgroup_id_x 1
		.amdhsa_system_sgpr_workgroup_id_y 0
		.amdhsa_system_sgpr_workgroup_id_z 0
		.amdhsa_system_sgpr_workgroup_info 0
		.amdhsa_system_vgpr_workitem_id 0
		.amdhsa_next_free_vgpr 209
		.amdhsa_next_free_sgpr 20
		.amdhsa_reserve_vcc 1
		.amdhsa_float_round_mode_32 0
		.amdhsa_float_round_mode_16_64 0
		.amdhsa_float_denorm_mode_32 3
		.amdhsa_float_denorm_mode_16_64 3
		.amdhsa_fp16_overflow 0
		.amdhsa_workgroup_processor_mode 1
		.amdhsa_memory_ordered 1
		.amdhsa_forward_progress 0
		.amdhsa_round_robin_scheduling 0
		.amdhsa_exception_fp_ieee_invalid_op 0
		.amdhsa_exception_fp_denorm_src 0
		.amdhsa_exception_fp_ieee_div_zero 0
		.amdhsa_exception_fp_ieee_overflow 0
		.amdhsa_exception_fp_ieee_underflow 0
		.amdhsa_exception_fp_ieee_inexact 0
		.amdhsa_exception_int_div_zero 0
	.end_amdhsa_kernel
	.text
.Lfunc_end0:
	.size	fft_rtc_fwd_len80_factors_4_4_5_wgs_190_tpt_5_halfLds_dim2_sp_ip_CI_sbcc_twdbase8_3step_dirReg_intrinsicReadWrite, .Lfunc_end0-fft_rtc_fwd_len80_factors_4_4_5_wgs_190_tpt_5_halfLds_dim2_sp_ip_CI_sbcc_twdbase8_3step_dirReg_intrinsicReadWrite
                                        ; -- End function
	.section	.AMDGPU.csdata,"",@progbits
; Kernel info:
; codeLenInByte = 11080
; NumSgprs: 22
; NumVgprs: 209
; ScratchSize: 0
; MemoryBound: 0
; FloatMode: 240
; IeeeMode: 1
; LDSByteSize: 0 bytes/workgroup (compile time only)
; SGPRBlocks: 2
; VGPRBlocks: 26
; NumSGPRsForWavesPerEU: 22
; NumVGPRsForWavesPerEU: 209
; Occupancy: 7
; WaveLimiterHint : 1
; COMPUTE_PGM_RSRC2:SCRATCH_EN: 0
; COMPUTE_PGM_RSRC2:USER_SGPR: 2
; COMPUTE_PGM_RSRC2:TRAP_HANDLER: 0
; COMPUTE_PGM_RSRC2:TGID_X_EN: 1
; COMPUTE_PGM_RSRC2:TGID_Y_EN: 0
; COMPUTE_PGM_RSRC2:TGID_Z_EN: 0
; COMPUTE_PGM_RSRC2:TIDIG_COMP_CNT: 0
	.text
	.p2alignl 7, 3214868480
	.fill 96, 4, 3214868480
	.type	__hip_cuid_e5689ea55a831a7d,@object ; @__hip_cuid_e5689ea55a831a7d
	.section	.bss,"aw",@nobits
	.globl	__hip_cuid_e5689ea55a831a7d
__hip_cuid_e5689ea55a831a7d:
	.byte	0                               ; 0x0
	.size	__hip_cuid_e5689ea55a831a7d, 1

	.ident	"AMD clang version 19.0.0git (https://github.com/RadeonOpenCompute/llvm-project roc-6.4.0 25133 c7fe45cf4b819c5991fe208aaa96edf142730f1d)"
	.section	".note.GNU-stack","",@progbits
	.addrsig
	.addrsig_sym __hip_cuid_e5689ea55a831a7d
	.amdgpu_metadata
---
amdhsa.kernels:
  - .args:
      - .actual_access:  read_only
        .address_space:  global
        .offset:         0
        .size:           8
        .value_kind:     global_buffer
      - .address_space:  global
        .offset:         8
        .size:           8
        .value_kind:     global_buffer
      - .actual_access:  read_only
        .address_space:  global
        .offset:         16
        .size:           8
        .value_kind:     global_buffer
      - .actual_access:  read_only
        .address_space:  global
        .offset:         24
        .size:           8
        .value_kind:     global_buffer
      - .offset:         32
        .size:           8
        .value_kind:     by_value
      - .actual_access:  read_only
        .address_space:  global
        .offset:         40
        .size:           8
        .value_kind:     global_buffer
      - .actual_access:  read_only
        .address_space:  global
        .offset:         48
        .size:           8
        .value_kind:     global_buffer
      - .offset:         56
        .size:           4
        .value_kind:     by_value
      - .actual_access:  read_only
        .address_space:  global
        .offset:         64
        .size:           8
        .value_kind:     global_buffer
      - .actual_access:  read_only
        .address_space:  global
        .offset:         72
        .size:           8
        .value_kind:     global_buffer
      - .address_space:  global
        .offset:         80
        .size:           8
        .value_kind:     global_buffer
    .group_segment_fixed_size: 0
    .kernarg_segment_align: 8
    .kernarg_segment_size: 88
    .language:       OpenCL C
    .language_version:
      - 2
      - 0
    .max_flat_workgroup_size: 190
    .name:           fft_rtc_fwd_len80_factors_4_4_5_wgs_190_tpt_5_halfLds_dim2_sp_ip_CI_sbcc_twdbase8_3step_dirReg_intrinsicReadWrite
    .private_segment_fixed_size: 0
    .sgpr_count:     22
    .sgpr_spill_count: 0
    .symbol:         fft_rtc_fwd_len80_factors_4_4_5_wgs_190_tpt_5_halfLds_dim2_sp_ip_CI_sbcc_twdbase8_3step_dirReg_intrinsicReadWrite.kd
    .uniform_work_group_size: 1
    .uses_dynamic_stack: false
    .vgpr_count:     209
    .vgpr_spill_count: 0
    .wavefront_size: 32
    .workgroup_processor_mode: 1
amdhsa.target:   amdgcn-amd-amdhsa--gfx1201
amdhsa.version:
  - 1
  - 2
...

	.end_amdgpu_metadata
